;; amdgpu-corpus repo=ROCm/rocFFT kind=compiled arch=gfx906 opt=O3
	.text
	.amdgcn_target "amdgcn-amd-amdhsa--gfx906"
	.amdhsa_code_object_version 6
	.protected	bluestein_single_back_len936_dim1_half_op_CI_CI ; -- Begin function bluestein_single_back_len936_dim1_half_op_CI_CI
	.globl	bluestein_single_back_len936_dim1_half_op_CI_CI
	.p2align	8
	.type	bluestein_single_back_len936_dim1_half_op_CI_CI,@function
bluestein_single_back_len936_dim1_half_op_CI_CI: ; @bluestein_single_back_len936_dim1_half_op_CI_CI
; %bb.0:
	v_mul_u32_u24_e32 v1, 0x349, v0
	s_load_dwordx4 s[16:19], s[4:5], 0x28
	v_lshrrev_b32_e32 v1, 16, v1
	v_mad_u64_u32 v[12:13], s[0:1], s6, 3, v[1:2]
	v_mov_b32_e32 v13, 0
	s_waitcnt lgkmcnt(0)
	v_cmp_gt_u64_e32 vcc, s[16:17], v[12:13]
	s_and_saveexec_b64 s[0:1], vcc
	s_cbranch_execz .LBB0_10
; %bb.1:
	s_load_dwordx4 s[8:11], s[4:5], 0x18
	s_load_dwordx4 s[12:15], s[4:5], 0x0
	v_mul_lo_u16_e32 v1, 0x4e, v1
	v_sub_u16_e32 v53, v0, v1
	v_and_b32_e32 v56, 1, v53
	s_waitcnt lgkmcnt(0)
	s_load_dwordx4 s[0:3], s[8:9], 0x0
	v_lshlrev_b32_e32 v78, 1, v53
	s_load_dwordx4 s[8:11], s[10:11], 0x0
                                        ; implicit-def: $vgpr80
                                        ; implicit-def: $vgpr81
	s_waitcnt lgkmcnt(0)
	v_mad_u64_u32 v[0:1], s[6:7], s2, v12, 0
	v_mad_u64_u32 v[2:3], s[6:7], s0, v53, 0
	s_mul_hi_u32 s7, s0, 0xfffff9e8
	s_mul_i32 s16, s0, 0xfffff9e8
	v_mad_u64_u32 v[4:5], s[2:3], s3, v12, v[1:2]
	s_mov_b32 s6, 0xaaaaaaab
	v_mad_u64_u32 v[5:6], s[2:3], s1, v53, v[3:4]
	v_mov_b32_e32 v1, v4
	v_lshlrev_b64 v[0:1], 2, v[0:1]
	v_mov_b32_e32 v6, s19
	v_mov_b32_e32 v3, v5
	v_add_co_u32_e32 v4, vcc, s18, v0
	v_addc_co_u32_e32 v5, vcc, v6, v1, vcc
	v_lshlrev_b64 v[0:1], 2, v[2:3]
	s_mul_i32 s2, s1, 0x750
	v_add_co_u32_e32 v2, vcc, v4, v0
	v_addc_co_u32_e32 v3, vcc, v5, v1, vcc
	global_load_dword v4, v[2:3], off
	v_lshlrev_b32_e32 v0, 2, v53
	global_load_dword v54, v0, s[12:13]
	global_load_dword v52, v0, s[12:13] offset:1872
	s_mul_hi_u32 s3, s0, 0x750
	s_add_i32 s2, s3, s2
	s_mul_i32 s3, s0, 0x750
	v_mov_b32_e32 v5, s2
	v_add_co_u32_e32 v1, vcc, s3, v2
	v_addc_co_u32_e32 v2, vcc, v3, v5, vcc
	global_load_dword v3, v[1:2], off
	s_mulk_i32 s1, 0xf9e8
	s_sub_i32 s0, s7, s0
	s_add_i32 s0, s0, s1
	v_mov_b32_e32 v6, s0
	v_add_co_u32_e32 v1, vcc, s16, v1
	v_addc_co_u32_e32 v2, vcc, v2, v6, vcc
	global_load_dword v49, v0, s[12:13] offset:2184
	global_load_dword v47, v0, s[12:13] offset:2496
	;; [unrolled: 1-line block ×7, first 2 shown]
	global_load_dword v6, v[1:2], off
	global_load_dword v42, v0, s[12:13] offset:1560
	v_mov_b32_e32 v7, s2
	v_add_co_u32_e32 v1, vcc, s3, v1
	v_addc_co_u32_e32 v2, vcc, v2, v7, vcc
	global_load_dword v7, v[1:2], off
	v_mov_b32_e32 v8, s0
	v_add_co_u32_e32 v1, vcc, s16, v1
	v_addc_co_u32_e32 v2, vcc, v2, v8, vcc
	global_load_dword v8, v[1:2], off
	v_mul_hi_u32 v5, v12, s6
	v_mov_b32_e32 v9, s2
	v_add_co_u32_e32 v1, vcc, s3, v1
	v_addc_co_u32_e32 v2, vcc, v2, v9, vcc
	global_load_dword v9, v[1:2], off
	v_lshrrev_b32_e32 v5, 1, v5
	v_mov_b32_e32 v10, s0
	v_add_co_u32_e32 v1, vcc, s16, v1
	v_lshl_add_u32 v5, v5, 1, v5
	v_addc_co_u32_e32 v2, vcc, v2, v10, vcc
	v_sub_u32_e32 v5, v12, v5
	global_load_dword v10, v[1:2], off
	v_mul_u32_u24_e32 v5, 0x3a8, v5
	v_lshlrev_b32_e32 v55, 2, v5
	v_mov_b32_e32 v5, s2
	v_add_co_u32_e32 v1, vcc, s3, v1
	v_addc_co_u32_e32 v2, vcc, v2, v5, vcc
	global_load_dword v5, v[1:2], off
	v_add_co_u32_e32 v1, vcc, s16, v1
	v_mov_b32_e32 v16, s0
	v_mov_b32_e32 v17, s2
	v_add_u32_e32 v50, v0, v55
	s_movk_i32 s6, 0x4e
	v_add_u32_e32 v21, 0x600, v50
	v_add_u32_e32 v22, 0xc00, v50
	v_lshl_add_u32 v31, v53, 3, v55
	s_waitcnt vmcnt(17)
	v_lshrrev_b32_e32 v11, 16, v4
	s_waitcnt vmcnt(16)
	v_mul_f16_sdwa v13, v54, v4 dst_sel:DWORD dst_unused:UNUSED_PAD src0_sel:WORD_1 src1_sel:DWORD
	v_mul_f16_sdwa v14, v54, v11 dst_sel:DWORD dst_unused:UNUSED_PAD src0_sel:WORD_1 src1_sel:DWORD
	v_fma_f16 v11, v54, v11, -v13
	v_fma_f16 v4, v54, v4, v14
	v_pack_b32_f16 v4, v4, v11
	v_mov_b32_e32 v11, s0
	v_addc_co_u32_e32 v2, vcc, v2, v11, vcc
	global_load_dword v11, v[1:2], off
	v_mov_b32_e32 v14, s2
	v_add_co_u32_e32 v1, vcc, s3, v1
	v_addc_co_u32_e32 v2, vcc, v2, v14, vcc
	global_load_dword v14, v[1:2], off
	global_load_dword v43, v0, s[12:13] offset:3120
	v_add_co_u32_e32 v1, vcc, s16, v1
	v_addc_co_u32_e32 v2, vcc, v2, v16, vcc
	global_load_dword v16, v[1:2], off
	v_add_co_u32_e32 v1, vcc, s3, v1
	v_addc_co_u32_e32 v2, vcc, v2, v17, vcc
	global_load_dword v17, v[1:2], off
	global_load_dword v41, v0, s[12:13] offset:3432
	s_waitcnt vmcnt(20)
	v_lshrrev_b32_e32 v13, 16, v3
	v_mul_f16_sdwa v15, v52, v13 dst_sel:DWORD dst_unused:UNUSED_PAD src0_sel:WORD_1 src1_sel:DWORD
	v_fma_f16 v15, v52, v3, v15
	v_mul_f16_sdwa v3, v52, v3 dst_sel:DWORD dst_unused:UNUSED_PAD src0_sel:WORD_1 src1_sel:DWORD
	v_fma_f16 v1, v52, v13, -v3
	v_pack_b32_f16 v1, v15, v1
	ds_write_b32 v50, v1 offset:1872
	s_waitcnt vmcnt(12)
	v_lshrrev_b32_e32 v1, 16, v6
	v_mul_f16_sdwa v2, v51, v1 dst_sel:DWORD dst_unused:UNUSED_PAD src0_sel:WORD_1 src1_sel:DWORD
	v_mul_f16_sdwa v3, v51, v6 dst_sel:DWORD dst_unused:UNUSED_PAD src0_sel:WORD_1 src1_sel:DWORD
	v_fma_f16 v2, v51, v6, v2
	v_fma_f16 v1, v51, v1, -v3
	v_pack_b32_f16 v1, v2, v1
	ds_write2_b32 v50, v4, v1 offset1:78
	s_waitcnt vmcnt(10)
	v_lshrrev_b32_e32 v1, 16, v7
	v_mul_f16_sdwa v2, v49, v1 dst_sel:DWORD dst_unused:UNUSED_PAD src0_sel:WORD_1 src1_sel:DWORD
	v_mul_f16_sdwa v3, v49, v7 dst_sel:DWORD dst_unused:UNUSED_PAD src0_sel:WORD_1 src1_sel:DWORD
	v_fma_f16 v2, v49, v7, v2
	v_fma_f16 v1, v49, v1, -v3
	v_pack_b32_f16 v2, v2, v1
	s_waitcnt vmcnt(9)
	v_lshrrev_b32_e32 v1, 16, v8
	v_mul_f16_sdwa v3, v48, v1 dst_sel:DWORD dst_unused:UNUSED_PAD src0_sel:WORD_1 src1_sel:DWORD
	v_mul_f16_sdwa v4, v48, v8 dst_sel:DWORD dst_unused:UNUSED_PAD src0_sel:WORD_1 src1_sel:DWORD
	v_fma_f16 v3, v48, v8, v3
	v_fma_f16 v1, v48, v1, -v4
	v_pack_b32_f16 v3, v3, v1
	;; [unrolled: 7-line block ×3, first 2 shown]
	v_add_u32_e32 v1, 0x800, v50
	ds_write2_b32 v1, v2, v4 offset0:34 offset1:112
	s_waitcnt vmcnt(7)
	v_lshrrev_b32_e32 v2, 16, v10
	v_mul_f16_sdwa v4, v46, v2 dst_sel:DWORD dst_unused:UNUSED_PAD src0_sel:WORD_1 src1_sel:DWORD
	v_mul_f16_sdwa v6, v46, v10 dst_sel:DWORD dst_unused:UNUSED_PAD src0_sel:WORD_1 src1_sel:DWORD
	v_fma_f16 v4, v46, v10, v4
	v_fma_f16 v2, v46, v2, -v6
	v_pack_b32_f16 v2, v4, v2
	ds_write2_b32 v50, v3, v2 offset0:156 offset1:234
	s_waitcnt vmcnt(6)
	v_lshrrev_b32_e32 v2, 16, v5
	v_mul_f16_sdwa v3, v45, v2 dst_sel:DWORD dst_unused:UNUSED_PAD src0_sel:WORD_1 src1_sel:DWORD
	v_mul_f16_sdwa v4, v45, v5 dst_sel:DWORD dst_unused:UNUSED_PAD src0_sel:WORD_1 src1_sel:DWORD
	v_fma_f16 v3, v45, v5, v3
	v_fma_f16 v2, v45, v2, -v4
	v_pack_b32_f16 v3, v3, v2
	v_add_co_u32_e32 v26, vcc, s6, v53
	v_addc_co_u32_e64 v28, s[0:1], 0, 0, vcc
	s_movk_i32 s0, 0x9c
	v_add_co_u32_e32 v25, vcc, s0, v53
	s_movk_i32 s0, 0xea
	v_add_co_u32_e32 v27, vcc, s0, v53
	;; [unrolled: 2-line block ×4, first 2 shown]
	s_waitcnt vmcnt(5)
	v_lshrrev_b32_e32 v2, 16, v11
	v_mul_f16_sdwa v4, v44, v2 dst_sel:DWORD dst_unused:UNUSED_PAD src0_sel:WORD_1 src1_sel:DWORD
	v_mul_f16_sdwa v5, v44, v11 dst_sel:DWORD dst_unused:UNUSED_PAD src0_sel:WORD_1 src1_sel:DWORD
	v_fma_f16 v4, v44, v11, v4
	v_fma_f16 v2, v44, v2, -v5
	v_pack_b32_f16 v4, v4, v2
	s_waitcnt vmcnt(4)
	v_lshrrev_b32_e32 v2, 16, v14
	s_waitcnt vmcnt(3)
	v_mul_f16_sdwa v5, v43, v2 dst_sel:DWORD dst_unused:UNUSED_PAD src0_sel:WORD_1 src1_sel:DWORD
	v_mul_f16_sdwa v6, v43, v14 dst_sel:DWORD dst_unused:UNUSED_PAD src0_sel:WORD_1 src1_sel:DWORD
	v_fma_f16 v5, v43, v14, v5
	v_fma_f16 v2, v43, v2, -v6
	v_pack_b32_f16 v5, v5, v2
	v_add_u32_e32 v2, 0xa00, v50
	ds_write2_b32 v2, v3, v5 offset0:62 offset1:140
	s_waitcnt vmcnt(2)
	v_lshrrev_b32_e32 v3, 16, v16
	v_mul_f16_sdwa v5, v42, v3 dst_sel:DWORD dst_unused:UNUSED_PAD src0_sel:WORD_1 src1_sel:DWORD
	v_mul_f16_sdwa v6, v42, v16 dst_sel:DWORD dst_unused:UNUSED_PAD src0_sel:WORD_1 src1_sel:DWORD
	v_fma_f16 v5, v42, v16, v5
	v_fma_f16 v3, v42, v3, -v6
	v_pack_b32_f16 v5, v5, v3
	v_add_u32_e32 v3, 0x400, v50
	ds_write2_b32 v3, v4, v5 offset0:56 offset1:134
	s_waitcnt vmcnt(1)
	v_lshrrev_b32_e32 v4, 16, v17
	s_waitcnt vmcnt(0)
	v_mul_f16_sdwa v5, v41, v4 dst_sel:DWORD dst_unused:UNUSED_PAD src0_sel:WORD_1 src1_sel:DWORD
	v_mul_f16_sdwa v6, v41, v17 dst_sel:DWORD dst_unused:UNUSED_PAD src0_sel:WORD_1 src1_sel:DWORD
	v_fma_f16 v5, v41, v17, v5
	v_fma_f16 v4, v41, v4, -v6
	v_pack_b32_f16 v4, v5, v4
	ds_write_b32 v50, v4 offset:3432
	s_waitcnt lgkmcnt(0)
	s_barrier
	ds_read2_b32 v[4:5], v50 offset1:78
	ds_read2_b32 v[6:7], v21 offset0:84 offset1:162
	ds_read2_b32 v[10:11], v50 offset0:156 offset1:234
	;; [unrolled: 1-line block ×5, first 2 shown]
	v_lshl_add_u32 v34, v26, 3, v55
	s_waitcnt lgkmcnt(4)
	v_pk_add_f16 v9, v4, v6 neg_lo:[0,1] neg_hi:[0,1]
	v_pk_add_f16 v6, v5, v7 neg_lo:[0,1] neg_hi:[0,1]
	s_waitcnt lgkmcnt(2)
	v_pk_add_f16 v20, v10, v13 neg_lo:[0,1] neg_hi:[0,1]
	v_pk_add_f16 v14, v11, v14 neg_lo:[0,1] neg_hi:[0,1]
	v_pk_fma_f16 v8, v4, 2.0, v9 op_sel_hi:[1,0,1] neg_lo:[0,0,1] neg_hi:[0,0,1]
	v_pk_fma_f16 v5, v5, 2.0, v6 op_sel_hi:[1,0,1] neg_lo:[0,0,1] neg_hi:[0,0,1]
	;; [unrolled: 1-line block ×4, first 2 shown]
	s_waitcnt lgkmcnt(0)
	v_pk_add_f16 v11, v15, v17 neg_lo:[0,1] neg_hi:[0,1]
	v_pk_add_f16 v17, v16, v18 neg_lo:[0,1] neg_hi:[0,1]
	v_lshl_add_u32 v33, v25, 3, v55
	v_lshlrev_b32_e32 v4, 2, v56
	v_pk_fma_f16 v10, v15, 2.0, v11 op_sel_hi:[1,0,1] neg_lo:[0,0,1] neg_hi:[0,0,1]
	v_pk_fma_f16 v16, v16, 2.0, v17 op_sel_hi:[1,0,1] neg_lo:[0,0,1] neg_hi:[0,0,1]
	s_barrier
	ds_write_b64 v31, v[8:9]
	v_lshl_add_u32 v37, v27, 3, v55
	v_lshl_add_u32 v35, v39, 3, v55
	ds_write_b64 v34, v[5:6]
	v_lshl_add_u32 v36, v40, 3, v55
	ds_write_b64 v33, v[19:20]
	ds_write_b64 v37, v[13:14]
	ds_write_b64 v35, v[10:11]
	ds_write_b64 v36, v[16:17]
	s_waitcnt lgkmcnt(0)
	s_barrier
	global_load_dword v32, v4, s[14:15]
	ds_read2_b32 v[4:5], v50 offset1:78
	ds_read2_b32 v[6:7], v21 offset0:84 offset1:162
	s_movk_i32 s0, 0xfc
	v_lshlrev_b32_e32 v38, 1, v26
	s_load_dwordx2 s[2:3], s[4:5], 0x38
	s_waitcnt lgkmcnt(0)
	v_lshrrev_b32_e32 v8, 16, v4
	v_lshrrev_b32_e32 v9, 16, v6
	s_waitcnt vmcnt(0)
	v_mul_f16_sdwa v10, v9, v32 dst_sel:DWORD dst_unused:UNUSED_PAD src0_sel:DWORD src1_sel:WORD_1
	v_fma_f16 v10, v6, v32, -v10
	v_mul_f16_sdwa v6, v6, v32 dst_sel:DWORD dst_unused:UNUSED_PAD src0_sel:DWORD src1_sel:WORD_1
	v_fma_f16 v6, v9, v32, v6
	v_sub_f16_e32 v14, v4, v10
	v_sub_f16_e32 v57, v8, v6
	v_fma_f16 v13, v4, 2.0, -v14
	v_fma_f16 v64, v8, 2.0, -v57
	v_and_or_b32 v4, v78, s0, v56
	v_lshl_add_u32 v58, v4, 2, v55
	v_pack_b32_f16 v4, v13, v64
	v_pack_b32_f16 v6, v14, v57
	ds_read2_b32 v[8:9], v22 offset0:12 offset1:90
	ds_read2_b32 v[10:11], v50 offset0:156 offset1:234
	;; [unrolled: 1-line block ×4, first 2 shown]
	s_waitcnt lgkmcnt(0)
	s_barrier
	ds_write2_b32 v58, v4, v6 offset1:2
	v_lshrrev_b32_e32 v4, 16, v7
	v_mul_f16_sdwa v6, v4, v32 dst_sel:DWORD dst_unused:UNUSED_PAD src0_sel:DWORD src1_sel:WORD_1
	v_fma_f16 v6, v7, v32, -v6
	v_sub_f16_e32 v16, v5, v6
	v_mul_f16_sdwa v6, v7, v32 dst_sel:DWORD dst_unused:UNUSED_PAD src0_sel:DWORD src1_sel:WORD_1
	v_fma_f16 v15, v5, 2.0, -v16
	v_lshrrev_b32_e32 v5, 16, v5
	v_fma_f16 v4, v4, v32, v6
	v_sub_f16_e32 v69, v5, v4
	s_movk_i32 s0, 0x1fc
	v_fma_f16 v66, v5, 2.0, -v69
	v_and_or_b32 v4, v38, s0, v56
	v_lshl_add_u32 v59, v4, 2, v55
	v_pack_b32_f16 v4, v15, v66
	v_pack_b32_f16 v5, v16, v69
	ds_write2_b32 v59, v4, v5 offset1:2
	v_lshrrev_b32_e32 v4, 16, v20
	v_mul_f16_sdwa v5, v20, v32 dst_sel:DWORD dst_unused:UNUSED_PAD src0_sel:DWORD src1_sel:WORD_1
	v_fma_f16 v5, v4, v32, v5
	v_mul_f16_sdwa v4, v4, v32 dst_sel:DWORD dst_unused:UNUSED_PAD src0_sel:DWORD src1_sel:WORD_1
	v_fma_f16 v4, v20, v32, -v4
	v_lshrrev_b32_e32 v6, 16, v10
	v_sub_f16_e32 v71, v6, v5
	v_sub_f16_e32 v18, v10, v4
	s_movk_i32 s0, 0x3fc
	v_lshlrev_b32_e32 v4, 1, v25
	v_fma_f16 v17, v10, 2.0, -v18
	v_fma_f16 v70, v6, 2.0, -v71
	v_and_or_b32 v4, v4, s0, v56
	v_lshl_add_u32 v60, v4, 2, v55
	v_pack_b32_f16 v4, v17, v70
	v_pack_b32_f16 v5, v18, v71
	ds_write2_b32 v60, v4, v5 offset1:2
	v_lshrrev_b32_e32 v4, 16, v21
	v_mul_f16_sdwa v5, v4, v32 dst_sel:DWORD dst_unused:UNUSED_PAD src0_sel:DWORD src1_sel:WORD_1
	v_fma_f16 v5, v21, v32, -v5
	v_mul_f16_sdwa v6, v21, v32 dst_sel:DWORD dst_unused:UNUSED_PAD src0_sel:DWORD src1_sel:WORD_1
	v_sub_f16_e32 v20, v11, v5
	v_lshrrev_b32_e32 v5, 16, v11
	v_fma_f16 v4, v4, v32, v6
	v_sub_f16_e32 v73, v5, v4
	v_lshlrev_b32_e32 v4, 1, v27
	v_fma_f16 v19, v11, 2.0, -v20
	v_fma_f16 v72, v5, 2.0, -v73
	v_and_or_b32 v4, v4, s0, v56
	v_lshl_add_u32 v61, v4, 2, v55
	v_pack_b32_f16 v4, v19, v72
	v_pack_b32_f16 v5, v20, v73
	ds_write2_b32 v61, v4, v5 offset1:2
	v_lshrrev_b32_e32 v4, 16, v8
	v_mul_f16_sdwa v5, v8, v32 dst_sel:DWORD dst_unused:UNUSED_PAD src0_sel:DWORD src1_sel:WORD_1
	v_fma_f16 v5, v4, v32, v5
	v_mul_f16_sdwa v4, v4, v32 dst_sel:DWORD dst_unused:UNUSED_PAD src0_sel:DWORD src1_sel:WORD_1
	v_fma_f16 v4, v8, v32, -v4
	v_lshrrev_b32_e32 v6, 16, v29
	v_sub_f16_e32 v75, v6, v5
	v_sub_f16_e32 v22, v29, v4
	v_lshlrev_b32_e32 v4, 1, v39
	v_fma_f16 v21, v29, 2.0, -v22
	v_fma_f16 v74, v6, 2.0, -v75
	v_and_or_b32 v4, v4, s0, v56
	v_lshl_add_u32 v62, v4, 2, v55
	v_pack_b32_f16 v4, v21, v74
	v_pack_b32_f16 v5, v22, v75
	ds_write2_b32 v62, v4, v5 offset1:2
	v_lshrrev_b32_e32 v4, 16, v9
	v_mul_f16_sdwa v5, v4, v32 dst_sel:DWORD dst_unused:UNUSED_PAD src0_sel:DWORD src1_sel:WORD_1
	v_fma_f16 v5, v9, v32, -v5
	v_mul_f16_sdwa v6, v9, v32 dst_sel:DWORD dst_unused:UNUSED_PAD src0_sel:DWORD src1_sel:WORD_1
	v_sub_f16_e32 v24, v30, v5
	v_lshrrev_b32_e32 v5, 16, v30
	v_fma_f16 v4, v4, v32, v6
	s_movk_i32 s0, 0x7fc
	v_lshlrev_b32_e32 v6, 1, v40
	v_sub_f16_e32 v76, v5, v4
	v_fma_f16 v23, v30, 2.0, -v24
	v_and_or_b32 v6, v6, s0, v56
	v_fma_f16 v77, v5, 2.0, -v76
	v_lshl_add_u32 v63, v6, 2, v55
	v_pack_b32_f16 v4, v23, v77
	v_pack_b32_f16 v5, v24, v76
	ds_write2_b32 v63, v4, v5 offset1:2
	v_mov_b32_e32 v4, s13
	v_add_co_u32_e32 v29, vcc, s12, v0
	v_addc_co_u32_e32 v30, vcc, 0, v4, vcc
	s_movk_i32 s0, 0x48
	v_cmp_gt_u16_e32 vcc, s0, v53
	s_waitcnt lgkmcnt(0)
	s_barrier
	s_and_saveexec_b64 s[0:1], vcc
	s_cbranch_execz .LBB0_3
; %bb.2:
	ds_read2_b32 v[13:14], v50 offset1:72
	ds_read2_b32 v[15:16], v50 offset0:144 offset1:216
	ds_read2_b32 v[17:18], v3 offset0:32 offset1:104
	;; [unrolled: 1-line block ×5, first 2 shown]
	ds_read_b32 v80, v50 offset:3456
	s_waitcnt lgkmcnt(6)
	v_lshrrev_b32_e32 v64, 16, v13
	v_lshrrev_b32_e32 v57, 16, v14
	s_waitcnt lgkmcnt(5)
	v_lshrrev_b32_e32 v66, 16, v15
	v_lshrrev_b32_e32 v69, 16, v16
	;; [unrolled: 3-line block ×6, first 2 shown]
	s_waitcnt lgkmcnt(0)
	v_lshrrev_b32_e32 v81, 16, v80
.LBB0_3:
	s_or_b64 exec, exec, s[0:1]
	v_and_b32_e32 v56, 3, v53
	v_mul_u32_u24_e32 v0, 12, v56
	v_lshlrev_b32_e32 v65, 2, v0
	global_load_dwordx4 v[4:7], v65, s[14:15] offset:8
	global_load_dwordx4 v[0:3], v65, s[14:15] offset:24
	;; [unrolled: 1-line block ×3, first 2 shown]
	s_movk_i32 s4, 0x3b15
	s_movk_i32 s5, 0x388b
	s_movk_i32 s6, 0x2fb7
	s_mov_b32 s17, 0xb5ac
	s_mov_b32 s18, 0xb9fd
	;; [unrolled: 1-line block ×9, first 2 shown]
	s_waitcnt vmcnt(0)
	s_barrier
	v_mul_f16_sdwa v65, v57, v4 dst_sel:DWORD dst_unused:UNUSED_PAD src0_sel:DWORD src1_sel:WORD_1
	v_mul_f16_sdwa v67, v14, v4 dst_sel:DWORD dst_unused:UNUSED_PAD src0_sel:DWORD src1_sel:WORD_1
	;; [unrolled: 1-line block ×19, first 2 shown]
	v_fma_f16 v65, v14, v4, -v65
	v_fma_f16 v14, v57, v4, v67
	v_fma_f16 v67, v15, v5, -v68
	v_fma_f16 v15, v66, v5, v79
	;; [unrolled: 2-line block ×3, first 2 shown]
	v_mul_f16_sdwa v93, v21, v3 dst_sel:DWORD dst_unused:UNUSED_PAD src0_sel:DWORD src1_sel:WORD_1
	v_mul_f16_sdwa v94, v75, v8 dst_sel:DWORD dst_unused:UNUSED_PAD src0_sel:DWORD src1_sel:WORD_1
	;; [unrolled: 1-line block ×5, first 2 shown]
	v_fma_f16 v68, v16, v6, -v82
	v_fma_f16 v16, v69, v6, v83
	v_fma_f16 v69, v17, v7, -v84
	v_fma_f16 v17, v70, v7, v85
	;; [unrolled: 2-line block ×5, first 2 shown]
	v_fma_f16 v73, v21, v3, -v92
	v_fma_f16 v79, v24, v10, -v98
	v_fma_f16 v24, v76, v10, v99
	v_sub_f16_e32 v92, v65, v80
	v_sub_f16_e32 v111, v14, v66
	v_fma_f16 v21, v74, v3, v93
	v_fma_f16 v74, v22, v8, -v94
	v_fma_f16 v22, v75, v8, v95
	v_fma_f16 v75, v23, v9, -v96
	v_fma_f16 v23, v77, v9, v97
	v_add_f16_e32 v84, v65, v80
	v_add_f16_e32 v105, v14, v66
	v_sub_f16_e32 v93, v67, v79
	v_sub_f16_e32 v112, v15, v24
	v_mul_f16_e32 v81, 0xb770, v111
	v_mul_f16_e32 v87, 0xb770, v92
	v_add_f16_e32 v85, v67, v79
	v_add_f16_e32 v106, v15, v24
	v_sub_f16_e32 v94, v68, v75
	v_sub_f16_e32 v113, v16, v23
	v_mul_f16_e32 v82, 0xba95, v112
	v_mul_f16_e32 v88, 0xba95, v93
	v_fma_f16 v57, v84, s4, v81
	v_fma_f16 v76, v105, s4, -v87
	v_add_f16_e32 v86, v68, v75
	v_add_f16_e32 v107, v16, v23
	v_mul_f16_e32 v83, 0xbbf1, v113
	v_mul_f16_e32 v89, 0xbbf1, v94
	v_fma_f16 v77, v85, s5, v82
	v_fma_f16 v91, v106, s5, -v88
	v_add_f16_e32 v57, v13, v57
	v_add_f16_e32 v76, v64, v76
	v_sub_f16_e32 v114, v17, v22
	v_add_f16_e32 v90, v69, v74
	v_fma_f16 v95, v86, s6, v83
	v_fma_f16 v96, v107, s6, -v89
	v_add_f16_e32 v57, v77, v57
	v_add_f16_e32 v76, v91, v76
	v_sub_f16_e32 v100, v69, v74
	v_mul_f16_e32 v91, 0xbb7b, v114
	v_add_f16_e32 v57, v95, v57
	v_add_f16_e32 v76, v96, v76
	;; [unrolled: 1-line block ×3, first 2 shown]
	v_mul_f16_e32 v96, 0xbb7b, v100
	v_fma_f16 v77, v90, s17, v91
	v_sub_f16_e32 v115, v18, v21
	v_add_f16_e32 v57, v77, v57
	v_fma_f16 v77, v108, s17, -v96
	v_add_f16_e32 v99, v70, v73
	v_sub_f16_e32 v103, v70, v73
	v_mul_f16_e32 v95, 0xb94e, v115
	v_add_f16_e32 v76, v77, v76
	v_add_f16_e32 v109, v18, v21
	v_mul_f16_e32 v98, 0xb94e, v103
	v_fma_f16 v77, v99, s18, v95
	v_sub_f16_e32 v116, v19, v20
	v_add_f16_e32 v57, v77, v57
	v_fma_f16 v77, v109, s18, -v98
	v_add_f16_e32 v102, v71, v72
	v_sub_f16_e32 v104, v71, v72
	v_mul_f16_e32 v97, 0xb3a8, v116
	v_add_f16_e32 v77, v77, v76
	v_add_f16_e32 v110, v19, v20
	v_mul_f16_e32 v101, 0xb3a8, v104
	v_fma_f16 v76, v102, s20, v97
	v_add_f16_e32 v76, v76, v57
	v_fma_f16 v57, v110, s20, -v101
	v_add_f16_e32 v77, v57, v77
	v_lshrrev_b32_e32 v57, 2, v53
	s_and_saveexec_b64 s[0:1], vcc
	s_cbranch_execz .LBB0_5
; %bb.4:
	v_mul_f16_e32 v117, 0x388b, v105
	s_movk_i32 s27, 0x3a95
	v_fma_f16 v118, v92, s27, v117
	v_mul_f16_e32 v119, 0xb5ac, v106
	s_movk_i32 s25, 0x3b7b
	v_add_f16_e32 v118, v64, v118
	v_fma_f16 v120, v93, s25, v119
	v_add_f16_e32 v118, v120, v118
	v_mul_f16_e32 v120, 0xbbc4, v107
	s_movk_i32 s28, 0x33a8
	v_fma_f16 v121, v94, s28, v120
	v_add_f16_e32 v118, v121, v118
	v_mul_f16_e32 v121, 0xb9fd, v108
	v_fma_f16 v122, v100, s22, v121
	v_add_f16_e32 v118, v122, v118
	v_mul_f16_e32 v122, 0x2fb7, v109
	;; [unrolled: 3-line block ×4, first 2 shown]
	v_fma_f16 v125, v84, s5, v124
	v_mul_f16_e32 v126, 0xbb7b, v112
	v_add_f16_e32 v125, v13, v125
	v_fma_f16 v127, v85, s17, v126
	v_add_f16_e32 v125, v127, v125
	v_mul_f16_e32 v127, 0xb3a8, v113
	v_fma_f16 v128, v86, s20, v127
	v_add_f16_e32 v125, v128, v125
	v_mul_f16_e32 v128, 0x394e, v114
	;; [unrolled: 3-line block ×4, first 2 shown]
	v_fma_f16 v131, v102, s4, v130
	s_movk_i32 s26, 0x3bf1
	v_add_f16_e32 v125, v131, v125
	v_mul_f16_e32 v131, 0x2fb7, v105
	v_fma_f16 v132, v92, s26, v131
	v_mul_f16_e32 v133, 0xbbc4, v106
	v_add_f16_e32 v132, v64, v132
	v_fma_f16 v134, v93, s28, v133
	v_add_f16_e32 v132, v134, v132
	v_mul_f16_e32 v134, 0xb5ac, v107
	v_fma_f16 v135, v94, s19, v134
	v_add_f16_e32 v132, v135, v132
	v_mul_f16_e32 v135, 0x3b15, v108
	;; [unrolled: 3-line block ×3, first 2 shown]
	v_fma_f16 v137, v103, s27, v136
	s_movk_i32 s24, 0x394e
	v_add_f16_e32 v132, v137, v132
	v_mul_f16_e32 v137, 0xb9fd, v110
	v_fma_f16 v138, v104, s24, v137
	v_add_f16_e32 v132, v138, v132
	v_mul_f16_e32 v138, 0xbbf1, v111
	v_fma_f16 v139, v84, s6, v138
	v_mul_f16_e32 v140, 0xb3a8, v112
	v_add_f16_e32 v139, v13, v139
	v_fma_f16 v141, v85, s20, v140
	v_add_f16_e32 v139, v141, v139
	v_mul_f16_e32 v141, 0x3b7b, v113
	v_fma_f16 v142, v86, s17, v141
	v_add_f16_e32 v139, v142, v139
	v_mul_f16_e32 v142, 0x3770, v114
	v_fma_f16 v143, v90, s4, v142
	v_add_f16_e32 v139, v143, v139
	v_mul_f16_e32 v143, 0xba95, v115
	v_fma_f16 v144, v99, s5, v143
	v_add_f16_e32 v139, v144, v139
	v_mul_f16_e32 v144, 0xb94e, v116
	v_fma_f16 v145, v102, s18, v144
	v_add_f16_e32 v139, v145, v139
	v_mul_f16_e32 v145, 0xb5ac, v105
	v_fma_f16 v146, v92, s25, v145
	v_mul_f16_e32 v147, 0xb9fd, v106
	v_add_f16_e32 v146, v64, v146
	v_fma_f16 v148, v93, s22, v147
	v_add_f16_e32 v146, v148, v146
	v_mul_f16_e32 v148, 0x3b15, v107
	v_fma_f16 v149, v94, s23, v148
	v_add_f16_e32 v146, v149, v146
	v_mul_f16_e32 v149, 0x2fb7, v108
	v_fma_f16 v150, v100, s26, v149
	v_add_f16_e32 v146, v150, v146
	v_mul_f16_e32 v150, 0xbbc4, v109
	v_fma_f16 v151, v103, s21, v150
	;; [unrolled: 18-line block ×6, first 2 shown]
	v_add_f16_e32 v174, v179, v174
	v_mul_f16_e32 v179, 0x2fb7, v110
	v_fma_f16 v180, v104, s16, v179
	v_mul_f16_e32 v111, 0xb3a8, v111
	v_add_f16_e32 v174, v180, v174
	v_fma_f16 v180, v84, s20, v111
	v_mul_f16_e32 v112, 0x3770, v112
	v_fma_f16 v111, v84, s20, -v111
	v_fma_f16 v181, v85, s4, v112
	v_mul_f16_e32 v113, 0xb94e, v113
	v_add_f16_e32 v111, v13, v111
	v_fma_f16 v112, v85, s4, -v112
	v_mul_f16_e32 v114, 0x3a95, v114
	v_add_f16_e32 v111, v112, v111
	v_fma_f16 v112, v86, s18, -v113
	;; [unrolled: 3-line block ×4, first 2 shown]
	v_add_f16_e32 v111, v112, v111
	v_fma_f16 v112, v102, s6, -v116
	v_add_f16_e32 v180, v13, v180
	v_add_f16_e32 v111, v112, v111
	v_fma_f16 v112, v92, s22, v159
	v_add_f16_e32 v180, v181, v180
	v_fma_f16 v181, v86, s18, v113
	;; [unrolled: 2-line block ×4, first 2 shown]
	s_movk_i32 s23, 0x3770
	v_add_f16_e32 v112, v113, v112
	v_fma_f16 v113, v100, s28, v163
	v_fma_f16 v145, v92, s19, v145
	;; [unrolled: 1-line block ×3, first 2 shown]
	v_add_f16_e32 v112, v113, v112
	v_fma_f16 v113, v103, s23, v164
	v_add_f16_e32 v145, v64, v145
	v_fma_f16 v147, v93, s24, v147
	;; [unrolled: 2-line block ×6, first 2 shown]
	v_add_f16_e32 v112, v113, v112
	v_fma_f16 v113, v84, s18, -v166
	v_add_f16_e32 v145, v148, v145
	v_fma_f16 v148, v100, s16, v149
	v_add_f16_e32 v131, v133, v131
	v_fma_f16 v133, v100, s23, v135
	;; [unrolled: 2-line block ×3, first 2 shown]
	v_add_f16_e32 v113, v13, v113
	v_fma_f16 v114, v85, s6, -v168
	v_add_f16_e32 v145, v148, v145
	v_fma_f16 v148, v103, s28, v150
	v_add_f16_e32 v131, v133, v131
	v_fma_f16 v133, v103, s7, v136
	v_add_f16_e32 v113, v114, v113
	v_mul_f16_e32 v114, 0x3b15, v84
	v_add_f16_e32 v145, v148, v145
	v_fma_f16 v148, v104, s27, v151
	v_add_f16_e32 v131, v133, v131
	v_fma_f16 v133, v104, s22, v137
	;; [unrolled: 2-line block ×3, first 2 shown]
	v_fma_f16 v115, v86, s5, -v169
	v_add_f16_e32 v145, v148, v145
	v_fma_f16 v148, v84, s17, -v152
	v_add_f16_e32 v131, v133, v131
	v_fma_f16 v133, v84, s6, -v138
	v_fma_f16 v84, v84, s5, -v124
	v_sub_f16_e32 v81, v114, v81
	v_add_f16_e32 v113, v115, v113
	v_mul_f16_e32 v115, 0x388b, v85
	v_add_f16_e32 v148, v13, v148
	v_fma_f16 v149, v85, s18, -v154
	v_add_f16_e32 v133, v13, v133
	v_fma_f16 v134, v85, s20, -v140
	;; [unrolled: 2-line block ×3, first 2 shown]
	v_add_f16_e32 v81, v13, v81
	v_add_f16_e32 v13, v13, v65
	;; [unrolled: 1-line block ×4, first 2 shown]
	v_fma_f16 v85, v86, s20, -v127
	v_add_f16_e32 v13, v13, v67
	v_add_f16_e32 v14, v14, v15
	;; [unrolled: 1-line block ×3, first 2 shown]
	v_fma_f16 v85, v90, s18, -v128
	v_add_f16_e32 v13, v13, v68
	v_add_f16_e32 v14, v14, v16
	;; [unrolled: 1-line block ×3, first 2 shown]
	v_fma_f16 v85, v99, s6, -v129
	v_add_f16_e32 v13, v13, v69
	v_add_f16_e32 v14, v14, v17
	v_mul_f16_e32 v105, 0x3b15, v105
	v_add_f16_e32 v84, v85, v84
	v_fma_f16 v85, v102, s4, -v130
	v_add_f16_e32 v13, v13, v70
	v_add_f16_e32 v14, v14, v18
	;; [unrolled: 1-line block ×3, first 2 shown]
	v_fma_f16 v181, v102, s6, v116
	v_mul_f16_e32 v106, 0x388b, v106
	v_fma_f16 v116, v90, s20, -v170
	v_add_f16_e32 v84, v85, v84
	v_add_f16_e32 v85, v87, v105
	v_add_f16_e32 v13, v13, v71
	v_add_f16_e32 v14, v14, v19
	v_fma_f16 v173, v92, s21, v173
	v_add_f16_e32 v113, v116, v113
	v_mul_f16_e32 v116, 0x2fb7, v86
	v_mul_f16_e32 v107, 0x2fb7, v107
	v_fma_f16 v159, v99, s4, -v171
	v_add_f16_e32 v148, v149, v148
	v_fma_f16 v149, v86, s4, -v155
	v_add_f16_e32 v133, v134, v133
	v_fma_f16 v134, v86, s17, -v141
	v_fma_f16 v92, v92, s7, v117
	v_add_f16_e32 v85, v64, v85
	v_add_f16_e32 v86, v88, v106
	v_sub_f16_e32 v82, v115, v82
	v_add_f16_e32 v13, v13, v72
	v_add_f16_e32 v14, v14, v20
	v_fma_f16 v175, v93, s23, v175
	v_add_f16_e32 v113, v159, v113
	v_mul_f16_e32 v159, 0xb5ac, v90
	v_mul_f16_e32 v108, 0xb5ac, v108
	v_fma_f16 v161, v102, s17, -v172
	v_add_f16_e32 v92, v64, v92
	v_fma_f16 v93, v93, s19, v119
	v_add_f16_e32 v85, v86, v85
	v_add_f16_e32 v86, v89, v107
	;; [unrolled: 1-line block ×3, first 2 shown]
	v_sub_f16_e32 v82, v116, v83
	v_add_f16_e32 v13, v13, v73
	v_add_f16_e32 v14, v14, v21
	;; [unrolled: 1-line block ×3, first 2 shown]
	v_mul_f16_e32 v161, 0xb9fd, v99
	v_mul_f16_e32 v109, 0xb9fd, v109
	v_add_f16_e32 v92, v93, v92
	v_fma_f16 v93, v94, s21, v120
	v_add_f16_e32 v85, v86, v85
	v_add_f16_e32 v86, v96, v108
	;; [unrolled: 1-line block ×3, first 2 shown]
	v_sub_f16_e32 v82, v159, v91
	v_add_f16_e32 v13, v13, v74
	v_add_f16_e32 v14, v14, v22
	;; [unrolled: 1-line block ×3, first 2 shown]
	v_mul_f16_e32 v147, 0xbbc4, v102
	v_mul_f16_e32 v110, 0xbbc4, v110
	v_add_f16_e32 v133, v134, v133
	v_fma_f16 v134, v90, s4, -v142
	v_add_f16_e32 v92, v93, v92
	v_fma_f16 v93, v100, s24, v121
	v_add_f16_e32 v85, v86, v85
	v_add_f16_e32 v86, v98, v109
	;; [unrolled: 1-line block ×3, first 2 shown]
	v_sub_f16_e32 v82, v161, v95
	v_add_f16_e32 v13, v13, v75
	v_add_f16_e32 v14, v14, v23
	v_add_f16_e32 v173, v175, v173
	v_fma_f16 v175, v94, s22, v176
	v_add_f16_e32 v148, v149, v148
	v_fma_f16 v149, v90, s6, -v156
	v_add_f16_e32 v133, v134, v133
	v_fma_f16 v134, v99, s5, -v143
	v_add_f16_e32 v92, v93, v92
	v_fma_f16 v93, v103, s26, v122
	v_add_f16_e32 v85, v86, v85
	v_add_f16_e32 v86, v101, v110
	;; [unrolled: 1-line block ×3, first 2 shown]
	v_sub_f16_e32 v82, v147, v97
	v_add_f16_e32 v13, v13, v79
	v_add_f16_e32 v14, v14, v24
	v_mul_u32_u24_e32 v15, 52, v57
	v_add_f16_e32 v173, v175, v173
	v_fma_f16 v175, v100, s27, v177
	v_add_f16_e32 v148, v149, v148
	v_fma_f16 v149, v99, s20, -v157
	v_add_f16_e32 v133, v134, v133
	v_fma_f16 v134, v102, s18, -v144
	v_add_f16_e32 v92, v93, v92
	v_fma_f16 v93, v104, s23, v123
	v_add_f16_e32 v85, v86, v85
	v_add_f16_e32 v81, v82, v81
	;; [unrolled: 1-line block ×4, first 2 shown]
	v_or_b32_e32 v15, v15, v56
	v_add_f16_e32 v173, v175, v173
	v_fma_f16 v175, v103, s19, v178
	v_add_f16_e32 v148, v149, v148
	v_fma_f16 v149, v102, s5, -v158
	v_add_f16_e32 v133, v134, v133
	v_add_f16_e32 v92, v93, v92
	v_lshl_add_u32 v15, v15, 2, v55
	v_pack_b32_f16 v13, v13, v14
	v_pack_b32_f16 v14, v81, v85
	v_add_f16_e32 v173, v175, v173
	v_fma_f16 v175, v104, s26, v179
	v_add_f16_e32 v148, v149, v148
	ds_write2_b32 v15, v13, v14 offset1:4
	v_pack_b32_f16 v13, v84, v92
	v_pack_b32_f16 v14, v133, v131
	v_add_f16_e32 v180, v181, v180
	v_add_f16_e32 v173, v175, v173
	ds_write2_b32 v15, v13, v14 offset0:8 offset1:12
	v_pack_b32_f16 v13, v148, v145
	v_pack_b32_f16 v14, v113, v112
	ds_write2_b32 v15, v13, v14 offset0:16 offset1:20
	v_pack_b32_f16 v13, v111, v173
	v_pack_b32_f16 v14, v180, v174
	;; [unrolled: 3-line block ×4, first 2 shown]
	s_mov_b32 s4, 0x5040100
	ds_write2_b32 v15, v13, v14 offset0:40 offset1:44
	v_perm_b32 v13, v77, v76, s4
	ds_write_b32 v15, v13 offset:192
.LBB0_5:
	s_or_b64 exec, exec, s[0:1]
	s_movk_i32 s0, 0xffcc
	v_add_co_u32_e64 v13, s[0:1], s0, v53
	v_addc_co_u32_e64 v14, s[0:1], 0, -1, s[0:1]
	v_cmp_gt_u16_e64 s[0:1], 52, v53
	v_cndmask_b32_e64 v14, v14, 0, s[0:1]
	v_cndmask_b32_e64 v13, v13, v53, s[0:1]
	v_lshlrev_b64 v[14:15], 2, v[13:14]
	v_mov_b32_e32 v24, s15
	v_add_co_u32_e64 v14, s[0:1], s14, v14
	v_addc_co_u32_e64 v15, s[0:1], v24, v15, s[0:1]
	s_movk_i32 s0, 0x4f
	v_mul_lo_u16_sdwa v16, v26, s0 dst_sel:DWORD dst_unused:UNUSED_PAD src0_sel:BYTE_0 src1_sel:DWORD
	v_mul_lo_u16_sdwa v79, v25, s0 dst_sel:DWORD dst_unused:UNUSED_PAD src0_sel:BYTE_0 src1_sel:DWORD
	v_lshrrev_b16_e32 v72, 12, v16
	v_lshrrev_b16_e32 v74, 12, v79
	v_mul_lo_u16_e32 v16, 52, v72
	v_mul_lo_u16_e32 v18, 52, v74
	s_movk_i32 s0, 0x4ec5
	v_sub_u16_e32 v73, v26, v16
	v_mov_b32_e32 v16, 2
	v_sub_u16_e32 v75, v25, v18
	v_mul_u32_u24_sdwa v80, v27, s0 dst_sel:DWORD dst_unused:UNUSED_PAD src0_sel:WORD_0 src1_sel:DWORD
	v_lshlrev_b32_sdwa v17, v16, v73 dst_sel:DWORD dst_unused:UNUSED_PAD src0_sel:DWORD src1_sel:BYTE_0
	v_lshlrev_b32_sdwa v16, v16, v75 dst_sel:DWORD dst_unused:UNUSED_PAD src0_sel:DWORD src1_sel:BYTE_0
	v_lshrrev_b32_e32 v81, 20, v80
	s_waitcnt lgkmcnt(0)
	s_barrier
	global_load_dword v67, v[14:15], off offset:200
	global_load_dword v65, v16, s[14:15] offset:200
	v_mul_lo_u16_e32 v14, 52, v81
	v_sub_u16_e32 v84, v27, v14
	v_lshlrev_b32_e32 v14, 2, v84
	global_load_dword v64, v14, s[14:15] offset:200
	v_mul_u32_u24_sdwa v14, v39, s0 dst_sel:DWORD dst_unused:UNUSED_PAD src0_sel:WORD_0 src1_sel:DWORD
	v_lshrrev_b32_e32 v85, 20, v14
	v_mul_lo_u16_e32 v14, 52, v85
	v_sub_u16_e32 v86, v39, v14
	v_mul_u32_u24_sdwa v15, v40, s0 dst_sel:DWORD dst_unused:UNUSED_PAD src0_sel:WORD_0 src1_sel:DWORD
	v_lshlrev_b32_e32 v14, 2, v86
	v_lshrrev_b32_e32 v87, 20, v15
	global_load_dword v66, v17, s[14:15] offset:200
	global_load_dword v68, v14, s[14:15] offset:200
	v_mul_lo_u16_e32 v14, 52, v87
	v_sub_u16_e32 v88, v40, v14
	v_lshlrev_b32_e32 v14, 2, v88
	global_load_dword v69, v14, s[14:15] offset:200
	v_add_u32_e32 v40, 0x600, v50
	ds_read2_b32 v[14:15], v50 offset1:78
	ds_read2_b32 v[16:17], v50 offset0:156 offset1:234
	v_add_u32_e32 v82, 0x800, v50
	v_add_u32_e32 v83, 0x400, v50
	;; [unrolled: 1-line block ×3, first 2 shown]
	ds_read2_b32 v[18:19], v40 offset0:84 offset1:162
	ds_read2_b32 v[20:21], v82 offset0:112 offset1:190
	;; [unrolled: 1-line block ×4, first 2 shown]
	s_waitcnt lgkmcnt(5)
	v_lshrrev_b32_e32 v89, 16, v14
	s_waitcnt lgkmcnt(3)
	v_lshrrev_b32_e32 v93, 16, v18
	v_cmp_lt_u16_e64 s[0:1], 51, v53
	s_waitcnt lgkmcnt(1)
	v_lshrrev_b32_e32 v97, 16, v22
	s_waitcnt lgkmcnt(0)
	v_lshrrev_b32_e32 v98, 16, v70
	v_lshrrev_b32_e32 v100, 16, v71
	;; [unrolled: 1-line block ×5, first 2 shown]
	s_waitcnt vmcnt(0)
	s_barrier
	v_lshrrev_b32_e32 v99, 16, v23
	v_lshrrev_b32_e32 v91, 16, v16
	;; [unrolled: 1-line block ×4, first 2 shown]
	s_movk_i32 s4, 0x68
	s_mov_b32 s5, 0xbaee
	v_mul_f16_sdwa v101, v93, v67 dst_sel:DWORD dst_unused:UNUSED_PAD src0_sel:DWORD src1_sel:WORD_1
	v_mul_f16_sdwa v102, v18, v67 dst_sel:DWORD dst_unused:UNUSED_PAD src0_sel:DWORD src1_sel:WORD_1
	v_fma_f16 v18, v18, v67, -v101
	v_fma_f16 v93, v93, v67, v102
	v_sub_f16_e32 v18, v14, v18
	v_sub_f16_e32 v93, v89, v93
	v_fma_f16 v14, v14, 2.0, -v18
	v_fma_f16 v89, v89, 2.0, -v93
	v_mul_f16_sdwa v105, v95, v65 dst_sel:DWORD dst_unused:UNUSED_PAD src0_sel:DWORD src1_sel:WORD_1
	v_mul_f16_sdwa v106, v20, v65 dst_sel:DWORD dst_unused:UNUSED_PAD src0_sel:DWORD src1_sel:WORD_1
	v_fma_f16 v20, v20, v65, -v105
	v_fma_f16 v95, v95, v65, v106
	v_mul_f16_sdwa v107, v96, v64 dst_sel:DWORD dst_unused:UNUSED_PAD src0_sel:DWORD src1_sel:WORD_1
	v_mul_f16_sdwa v103, v94, v66 dst_sel:DWORD dst_unused:UNUSED_PAD src0_sel:DWORD src1_sel:WORD_1
	;; [unrolled: 1-line block ×3, first 2 shown]
	v_fma_f16 v101, v70, v68, -v101
	v_mul_f16_sdwa v70, v70, v68 dst_sel:DWORD dst_unused:UNUSED_PAD src0_sel:DWORD src1_sel:WORD_1
	v_fma_f16 v70, v98, v68, v70
	v_mul_f16_sdwa v98, v100, v69 dst_sel:DWORD dst_unused:UNUSED_PAD src0_sel:DWORD src1_sel:WORD_1
	v_fma_f16 v98, v71, v69, -v98
	v_mul_f16_sdwa v71, v71, v69 dst_sel:DWORD dst_unused:UNUSED_PAD src0_sel:DWORD src1_sel:WORD_1
	v_fma_f16 v71, v100, v69, v71
	v_sub_f16_e32 v100, v22, v101
	v_sub_f16_e32 v101, v97, v70
	v_mov_b32_e32 v70, 0x68
	v_cndmask_b32_e64 v70, 0, v70, s[0:1]
	v_mul_f16_sdwa v104, v19, v66 dst_sel:DWORD dst_unused:UNUSED_PAD src0_sel:DWORD src1_sel:WORD_1
	v_add_u32_e32 v13, v13, v70
	v_fma_f16 v19, v19, v66, -v103
	v_fma_f16 v94, v94, v66, v104
	v_lshl_add_u32 v70, v13, 2, v55
	v_pack_b32_f16 v13, v14, v89
	v_pack_b32_f16 v14, v18, v93
	v_sub_f16_e32 v19, v15, v19
	v_sub_f16_e32 v94, v90, v94
	ds_write2_b32 v70, v13, v14 offset1:52
	v_mul_u32_u24_e32 v13, 0x68, v72
	v_fma_f16 v15, v15, 2.0, -v19
	v_fma_f16 v90, v90, 2.0, -v94
	v_add_u32_sdwa v13, v13, v73 dst_sel:DWORD dst_unused:UNUSED_PAD src0_sel:DWORD src1_sel:BYTE_0
	v_sub_f16_e32 v102, v99, v71
	v_lshl_add_u32 v71, v13, 2, v55
	v_pack_b32_f16 v13, v15, v90
	v_pack_b32_f16 v14, v19, v94
	v_mul_f16_sdwa v108, v21, v64 dst_sel:DWORD dst_unused:UNUSED_PAD src0_sel:DWORD src1_sel:WORD_1
	v_sub_f16_e32 v20, v16, v20
	v_sub_f16_e32 v95, v91, v95
	ds_write2_b32 v71, v13, v14 offset1:52
	v_mul_u32_u24_e32 v13, 0x68, v74
	v_fma_f16 v21, v21, v64, -v107
	v_fma_f16 v96, v96, v64, v108
	v_fma_f16 v16, v16, 2.0, -v20
	v_fma_f16 v91, v91, 2.0, -v95
	v_add_u32_sdwa v13, v13, v75 dst_sel:DWORD dst_unused:UNUSED_PAD src0_sel:DWORD src1_sel:BYTE_0
	v_sub_f16_e32 v21, v17, v21
	v_sub_f16_e32 v96, v92, v96
	v_lshl_add_u32 v72, v13, 2, v55
	v_pack_b32_f16 v13, v16, v91
	v_pack_b32_f16 v14, v20, v95
	v_fma_f16 v17, v17, 2.0, -v21
	v_fma_f16 v92, v92, 2.0, -v96
	ds_write2_b32 v72, v13, v14 offset1:52
	v_mad_legacy_u16 v13, v81, s4, v84
	v_lshl_add_u32 v73, v13, 2, v55
	v_pack_b32_f16 v13, v17, v92
	v_pack_b32_f16 v14, v21, v96
	s_movk_i32 s0, 0xffe6
	v_fma_f16 v22, v22, 2.0, -v100
	v_fma_f16 v97, v97, 2.0, -v101
	ds_write2_b32 v73, v13, v14 offset1:52
	v_mad_legacy_u16 v13, v85, s4, v86
	v_add_co_u32_e64 v15, s[0:1], s0, v53
	v_sub_f16_e32 v98, v23, v98
	v_lshl_add_u32 v74, v13, 2, v55
	v_pack_b32_f16 v13, v22, v97
	v_pack_b32_f16 v14, v100, v101
	v_addc_co_u32_e64 v16, s[0:1], 0, -1, s[0:1]
	v_fma_f16 v23, v23, 2.0, -v98
	v_fma_f16 v99, v99, 2.0, -v102
	ds_write2_b32 v74, v13, v14 offset1:52
	v_mad_legacy_u16 v13, v87, s4, v88
	v_cmp_gt_u16_e64 s[0:1], 26, v53
	v_lshl_add_u32 v75, v13, 2, v55
	v_pack_b32_f16 v13, v23, v99
	v_pack_b32_f16 v14, v98, v102
	v_lshlrev_b32_e32 v90, 2, v78
	v_cndmask_b32_e64 v22, v16, v28, s[0:1]
	v_cndmask_b32_e64 v21, v15, v26, s[0:1]
	ds_write2_b32 v75, v13, v14 offset1:52
	s_waitcnt lgkmcnt(0)
	s_barrier
	global_load_dwordx2 v[13:14], v90, s[14:15] offset:408
	v_lshlrev_b64 v[15:16], 3, v[21:22]
	v_lshrrev_b32_e32 v19, 21, v80
	v_add_co_u32_e64 v15, s[0:1], s14, v15
	v_addc_co_u32_e64 v16, s[0:1], v24, v16, s[0:1]
	global_load_dwordx2 v[15:16], v[15:16], off offset:408
	v_mul_lo_u16_e32 v19, 0x68, v19
	v_lshrrev_b16_e32 v26, 13, v79
	v_sub_u16_e32 v91, v27, v19
	v_mul_lo_u16_e32 v17, 0x68, v26
	v_lshlrev_b16_e32 v19, 3, v91
	v_sub_u16_e32 v28, v25, v17
	v_mov_b32_e32 v17, 3
	v_add_co_u32_e64 v19, s[0:1], s14, v19
	v_lshlrev_b32_sdwa v17, v17, v28 dst_sel:DWORD dst_unused:UNUSED_PAD src0_sel:DWORD src1_sel:BYTE_0
	v_addc_co_u32_e64 v20, s[0:1], 0, v24, s[0:1]
	global_load_dwordx2 v[19:20], v[19:20], off offset:408
	s_movk_i32 s4, 0x3aee
	global_load_dwordx2 v[17:18], v17, s[14:15] offset:408
	ds_read2_b32 v[22:23], v50 offset1:78
	ds_read2_b32 v[78:79], v83 offset0:56 offset1:134
	ds_read2_b32 v[80:81], v82 offset0:112 offset1:190
	;; [unrolled: 1-line block ×5, first 2 shown]
	s_waitcnt lgkmcnt(0)
	v_lshrrev_b32_e32 v24, 16, v22
	v_lshrrev_b32_e32 v92, 16, v78
	;; [unrolled: 1-line block ×12, first 2 shown]
	s_waitcnt vmcnt(0)
	s_barrier
	v_cmp_lt_u16_e64 s[0:1], 25, v53
	v_lshlrev_b32_e32 v25, 3, v25
	v_lshlrev_b32_e32 v27, 3, v27
	v_mul_f16_sdwa v103, v92, v13 dst_sel:DWORD dst_unused:UNUSED_PAD src0_sel:DWORD src1_sel:WORD_1
	v_fma_f16 v103, v78, v13, -v103
	v_mul_f16_sdwa v78, v78, v13 dst_sel:DWORD dst_unused:UNUSED_PAD src0_sel:DWORD src1_sel:WORD_1
	v_fma_f16 v78, v92, v13, v78
	v_mul_f16_sdwa v92, v93, v14 dst_sel:DWORD dst_unused:UNUSED_PAD src0_sel:DWORD src1_sel:WORD_1
	v_fma_f16 v92, v80, v14, -v92
	v_mul_f16_sdwa v80, v80, v14 dst_sel:DWORD dst_unused:UNUSED_PAD src0_sel:DWORD src1_sel:WORD_1
	v_fma_f16 v80, v93, v14, v80
	;; [unrolled: 4-line block ×4, first 2 shown]
	v_add_f16_e32 v104, v103, v92
	v_mul_f16_sdwa v96, v98, v17 dst_sel:DWORD dst_unused:UNUSED_PAD src0_sel:DWORD src1_sel:WORD_1
	v_fma_f16 v96, v86, v17, -v96
	v_mul_f16_sdwa v86, v86, v17 dst_sel:DWORD dst_unused:UNUSED_PAD src0_sel:DWORD src1_sel:WORD_1
	v_fma_f16 v86, v98, v17, v86
	v_mul_f16_sdwa v98, v99, v18 dst_sel:DWORD dst_unused:UNUSED_PAD src0_sel:DWORD src1_sel:WORD_1
	v_fma_f16 v98, v88, v18, -v98
	v_mul_f16_sdwa v88, v88, v18 dst_sel:DWORD dst_unused:UNUSED_PAD src0_sel:DWORD src1_sel:WORD_1
	v_fma_f16 v88, v99, v18, v88
	;; [unrolled: 4-line block ×4, first 2 shown]
	v_add_f16_e32 v102, v22, v103
	v_fma_f16 v22, v104, -0.5, v22
	v_sub_f16_e32 v104, v78, v80
	v_fma_f16 v105, v104, s4, v22
	v_fma_f16 v22, v104, s5, v22
	v_add_f16_e32 v104, v24, v78
	v_add_f16_e32 v78, v78, v80
	v_fma_f16 v24, v78, -0.5, v24
	v_sub_f16_e32 v78, v103, v92
	v_add_f16_e32 v104, v104, v80
	v_fma_f16 v80, v78, s5, v24
	v_fma_f16 v24, v78, s4, v24
	v_add_f16_e32 v78, v23, v93
	v_add_f16_e32 v102, v102, v92
	v_add_f16_e32 v92, v78, v95
	v_add_f16_e32 v78, v93, v95
	v_fma_f16 v23, v78, -0.5, v23
	v_sub_f16_e32 v78, v79, v81
	v_fma_f16 v103, v78, s4, v23
	v_fma_f16 v23, v78, s5, v23
	v_add_f16_e32 v78, v94, v79
	v_add_f16_e32 v106, v78, v81
	v_add_f16_e32 v78, v79, v81
	v_fma_f16 v78, v78, -0.5, v94
	v_sub_f16_e32 v79, v93, v95
	v_fma_f16 v81, v79, s5, v78
	v_fma_f16 v79, v79, s4, v78
	v_add_f16_e32 v78, v84, v96
	v_add_f16_e32 v93, v78, v98
	v_add_f16_e32 v78, v96, v98
	;; [unrolled: 7-line block ×4, first 2 shown]
	v_fma_f16 v78, v78, -0.5, v85
	v_sub_f16_e32 v85, v87, v89
	v_fma_f16 v97, v85, s4, v78
	v_fma_f16 v85, v85, s5, v78
	v_add_f16_e32 v78, v100, v87
	v_pack_b32_f16 v22, v22, v24
	v_add_f16_e32 v98, v78, v89
	v_add_f16_e32 v78, v87, v89
	ds_write_b32 v50, v22 offset:832
	v_mov_b32_e32 v22, 0x138
	v_fma_f16 v78, v78, -0.5, v100
	v_sub_f16_e32 v87, v99, v101
	v_cndmask_b32_e64 v22, 0, v22, s[0:1]
	v_fma_f16 v89, v87, s5, v78
	v_fma_f16 v87, v87, s4, v78
	v_pack_b32_f16 v78, v102, v104
	v_pack_b32_f16 v80, v105, v80
	v_add_u32_e32 v21, v21, v22
	ds_write2_b32 v50, v78, v80 offset1:104
	v_lshl_add_u32 v78, v21, 2, v55
	v_pack_b32_f16 v21, v92, v106
	v_pack_b32_f16 v22, v103, v81
	ds_write2_b32 v78, v21, v22 offset1:104
	v_pack_b32_f16 v21, v23, v79
	ds_write_b32 v78, v21 offset:832
	v_mul_u32_u24_e32 v21, 0x138, v26
	v_add_u32_sdwa v21, v21, v28 dst_sel:DWORD dst_unused:UNUSED_PAD src0_sel:DWORD src1_sel:BYTE_0
	v_lshl_add_u32 v79, v21, 2, v55
	v_pack_b32_f16 v21, v93, v95
	v_pack_b32_f16 v22, v94, v88
	ds_write2_b32 v79, v21, v22 offset1:104
	v_pack_b32_f16 v21, v84, v86
	v_lshl_add_u32 v80, v91, 2, v55
	ds_write_b32 v79, v21 offset:832
	v_pack_b32_f16 v21, v96, v98
	v_pack_b32_f16 v22, v97, v89
	v_add_u32_e32 v23, 0x800, v80
	ds_write2_b32 v23, v21, v22 offset0:112 offset1:216
	v_pack_b32_f16 v21, v85, v87
	ds_write_b32 v80, v21 offset:3328
	s_waitcnt lgkmcnt(0)
	s_barrier
	global_load_dwordx2 v[21:22], v90, s[14:15] offset:1240
	v_lshlrev_b32_e32 v23, 2, v38
	global_load_dwordx2 v[27:28], v27, s[14:15] offset:1240
	s_add_u32 s0, s12, 0xea0
	global_load_dwordx2 v[23:24], v23, s[14:15] offset:1240
	s_addc_u32 s1, s13, 0
	global_load_dwordx2 v[25:26], v25, s[14:15] offset:1240
	ds_read2_b32 v[84:85], v50 offset1:78
	ds_read2_b32 v[86:87], v83 offset0:56 offset1:134
	ds_read2_b32 v[88:89], v82 offset0:112 offset1:190
	;; [unrolled: 1-line block ×5, first 2 shown]
	s_waitcnt lgkmcnt(5)
	v_lshrrev_b32_e32 v38, 16, v84
	s_waitcnt lgkmcnt(4)
	v_lshrrev_b32_e32 v81, 16, v86
	;; [unrolled: 2-line block ×3, first 2 shown]
	v_lshrrev_b32_e32 v98, 16, v87
	v_lshrrev_b32_e32 v99, 16, v89
	s_waitcnt lgkmcnt(1)
	v_lshrrev_b32_e32 v101, 16, v92
	s_waitcnt lgkmcnt(0)
	v_lshrrev_b32_e32 v102, 16, v94
	v_lshrrev_b32_e32 v104, 16, v93
	;; [unrolled: 1-line block ×6, first 2 shown]
	s_waitcnt vmcnt(3)
	v_mul_f16_sdwa v106, v81, v21 dst_sel:DWORD dst_unused:UNUSED_PAD src0_sel:DWORD src1_sel:WORD_1
	v_fma_f16 v106, v86, v21, -v106
	v_mul_f16_sdwa v86, v86, v21 dst_sel:DWORD dst_unused:UNUSED_PAD src0_sel:DWORD src1_sel:WORD_1
	v_fma_f16 v81, v81, v21, v86
	v_mul_f16_sdwa v86, v96, v22 dst_sel:DWORD dst_unused:UNUSED_PAD src0_sel:DWORD src1_sel:WORD_1
	v_fma_f16 v86, v88, v22, -v86
	v_mul_f16_sdwa v88, v88, v22 dst_sel:DWORD dst_unused:UNUSED_PAD src0_sel:DWORD src1_sel:WORD_1
	v_fma_f16 v88, v96, v22, v88
	s_waitcnt vmcnt(1)
	v_mul_f16_sdwa v96, v98, v23 dst_sel:DWORD dst_unused:UNUSED_PAD src0_sel:DWORD src1_sel:WORD_1
	v_fma_f16 v96, v87, v23, -v96
	v_mul_f16_sdwa v87, v87, v23 dst_sel:DWORD dst_unused:UNUSED_PAD src0_sel:DWORD src1_sel:WORD_1
	v_fma_f16 v87, v98, v23, v87
	v_mul_f16_sdwa v98, v99, v24 dst_sel:DWORD dst_unused:UNUSED_PAD src0_sel:DWORD src1_sel:WORD_1
	v_fma_f16 v98, v89, v24, -v98
	v_mul_f16_sdwa v89, v89, v24 dst_sel:DWORD dst_unused:UNUSED_PAD src0_sel:DWORD src1_sel:WORD_1
	v_fma_f16 v89, v99, v24, v89
	;; [unrolled: 9-line block ×3, first 2 shown]
	v_mul_f16_sdwa v102, v104, v27 dst_sel:DWORD dst_unused:UNUSED_PAD src0_sel:DWORD src1_sel:WORD_1
	v_fma_f16 v102, v93, v27, -v102
	v_mul_f16_sdwa v93, v93, v27 dst_sel:DWORD dst_unused:UNUSED_PAD src0_sel:DWORD src1_sel:WORD_1
	v_fma_f16 v93, v104, v27, v93
	v_mul_f16_sdwa v104, v105, v28 dst_sel:DWORD dst_unused:UNUSED_PAD src0_sel:DWORD src1_sel:WORD_1
	v_fma_f16 v104, v95, v28, -v104
	v_mul_f16_sdwa v95, v95, v28 dst_sel:DWORD dst_unused:UNUSED_PAD src0_sel:DWORD src1_sel:WORD_1
	v_add_f16_e32 v107, v106, v86
	v_fma_f16 v95, v105, v28, v95
	v_add_f16_e32 v105, v84, v106
	v_fma_f16 v84, v107, -0.5, v84
	v_sub_f16_e32 v107, v81, v88
	v_fma_f16 v108, v107, s4, v84
	v_fma_f16 v84, v107, s5, v84
	v_add_f16_e32 v107, v38, v81
	v_add_f16_e32 v81, v81, v88
	v_fma_f16 v38, v81, -0.5, v38
	v_sub_f16_e32 v81, v106, v86
	v_add_f16_e32 v105, v105, v86
	v_fma_f16 v86, v81, s5, v38
	v_fma_f16 v38, v81, s4, v38
	v_add_f16_e32 v81, v85, v96
	v_add_f16_e32 v107, v107, v88
	v_add_f16_e32 v88, v81, v98
	v_add_f16_e32 v81, v96, v98
	v_fma_f16 v81, v81, -0.5, v85
	v_sub_f16_e32 v85, v87, v89
	v_fma_f16 v106, v85, s4, v81
	v_fma_f16 v85, v85, s5, v81
	v_add_f16_e32 v81, v97, v87
	v_add_f16_e32 v109, v81, v89
	v_add_f16_e32 v81, v87, v89
	v_fma_f16 v81, v81, -0.5, v97
	v_sub_f16_e32 v87, v96, v98
	v_fma_f16 v89, v87, s5, v81
	v_fma_f16 v87, v87, s4, v81
	v_add_f16_e32 v81, v90, v99
	v_add_f16_e32 v96, v81, v101
	v_add_f16_e32 v81, v99, v101
	;; [unrolled: 7-line block ×5, first 2 shown]
	v_fma_f16 v81, v81, -0.5, v103
	v_sub_f16_e32 v93, v102, v104
	v_fma_f16 v95, v93, s5, v81
	v_fma_f16 v93, v93, s4, v81
	v_pack_b32_f16 v81, v108, v86
	ds_write_b32 v50, v81 offset:1248
	v_lshl_add_u32 v81, v53, 2, v55
	v_pack_b32_f16 v38, v84, v38
	v_pack_b32_f16 v102, v105, v107
	ds_write_b32 v81, v38 offset:2496
	v_pack_b32_f16 v38, v88, v109
	ds_write2_b32 v50, v102, v38 offset1:78
	v_pack_b32_f16 v38, v106, v89
	ds_write_b32 v81, v38 offset:1560
	v_pack_b32_f16 v38, v85, v87
	ds_write_b32 v81, v38 offset:2808
	v_pack_b32_f16 v38, v96, v98
	v_pack_b32_f16 v86, v99, v101
	;; [unrolled: 1-line block ×3, first 2 shown]
	ds_write2_b32 v50, v38, v86 offset0:156 offset1:234
	v_pack_b32_f16 v38, v100, v95
	v_pack_b32_f16 v85, v90, v92
	ds_write2_b32 v40, v84, v38 offset0:84 offset1:162
	v_pack_b32_f16 v38, v91, v93
	ds_write2_b32 v39, v85, v38 offset0:12 offset1:90
	s_waitcnt lgkmcnt(0)
	s_barrier
	global_load_dword v38, v[29:30], off offset:3744
	v_lshlrev_b32_e32 v84, 2, v53
	global_load_dword v86, v84, s[0:1] offset:1872
	global_load_dword v87, v84, s[0:1] offset:312
	global_load_dword v88, v84, s[0:1] offset:2184
	global_load_dword v89, v84, s[0:1] offset:624
	global_load_dword v90, v84, s[0:1] offset:2496
	global_load_dword v91, v84, s[0:1] offset:936
	global_load_dword v92, v84, s[0:1] offset:2808
	global_load_dword v93, v84, s[0:1] offset:1248
	global_load_dword v94, v84, s[0:1] offset:3120
	global_load_dword v95, v84, s[0:1] offset:1560
	global_load_dword v96, v84, s[0:1] offset:3432
	ds_read2_b32 v[29:30], v50 offset1:78
	ds_read2_b32 v[84:85], v40 offset0:84 offset1:162
	s_waitcnt lgkmcnt(1)
	v_lshrrev_b32_e32 v97, 16, v29
	s_waitcnt vmcnt(11)
	v_mul_f16_sdwa v98, v97, v38 dst_sel:DWORD dst_unused:UNUSED_PAD src0_sel:DWORD src1_sel:WORD_1
	v_fma_f16 v98, v29, v38, -v98
	v_mul_f16_sdwa v29, v29, v38 dst_sel:DWORD dst_unused:UNUSED_PAD src0_sel:DWORD src1_sel:WORD_1
	v_fma_f16 v29, v97, v38, v29
	s_waitcnt lgkmcnt(0)
	v_lshrrev_b32_e32 v38, 16, v84
	s_waitcnt vmcnt(10)
	v_mul_f16_sdwa v97, v38, v86 dst_sel:DWORD dst_unused:UNUSED_PAD src0_sel:DWORD src1_sel:WORD_1
	v_fma_f16 v97, v84, v86, -v97
	v_mul_f16_sdwa v84, v84, v86 dst_sel:DWORD dst_unused:UNUSED_PAD src0_sel:DWORD src1_sel:WORD_1
	v_fma_f16 v38, v38, v86, v84
	v_lshrrev_b32_e32 v84, 16, v30
	s_waitcnt vmcnt(9)
	v_mul_f16_sdwa v86, v84, v87 dst_sel:DWORD dst_unused:UNUSED_PAD src0_sel:DWORD src1_sel:WORD_1
	v_fma_f16 v86, v30, v87, -v86
	v_mul_f16_sdwa v30, v30, v87 dst_sel:DWORD dst_unused:UNUSED_PAD src0_sel:DWORD src1_sel:WORD_1
	v_fma_f16 v30, v84, v87, v30
	v_pack_b32_f16 v29, v98, v29
	v_pack_b32_f16 v30, v86, v30
	v_lshrrev_b32_e32 v84, 16, v85
	ds_write2_b32 v50, v29, v30 offset1:78
	s_waitcnt vmcnt(8)
	v_mul_f16_sdwa v29, v84, v88 dst_sel:DWORD dst_unused:UNUSED_PAD src0_sel:DWORD src1_sel:WORD_1
	v_fma_f16 v86, v85, v88, -v29
	ds_read2_b32 v[29:30], v50 offset0:156 offset1:234
	v_mul_f16_sdwa v85, v85, v88 dst_sel:DWORD dst_unused:UNUSED_PAD src0_sel:DWORD src1_sel:WORD_1
	v_fma_f16 v84, v84, v88, v85
	v_pack_b32_f16 v38, v97, v38
	v_pack_b32_f16 v84, v86, v84
	ds_write2_b32 v40, v38, v84 offset0:84 offset1:162
	ds_read2_b32 v[84:85], v82 offset0:112 offset1:190
	s_waitcnt lgkmcnt(2)
	v_lshrrev_b32_e32 v38, 16, v29
	s_waitcnt vmcnt(7)
	v_mul_f16_sdwa v86, v38, v89 dst_sel:DWORD dst_unused:UNUSED_PAD src0_sel:DWORD src1_sel:WORD_1
	v_fma_f16 v86, v29, v89, -v86
	v_mul_f16_sdwa v29, v29, v89 dst_sel:DWORD dst_unused:UNUSED_PAD src0_sel:DWORD src1_sel:WORD_1
	v_fma_f16 v29, v38, v89, v29
	s_waitcnt lgkmcnt(0)
	v_lshrrev_b32_e32 v38, 16, v84
	v_pack_b32_f16 v29, v86, v29
	s_waitcnt vmcnt(6)
	v_mul_f16_sdwa v86, v38, v90 dst_sel:DWORD dst_unused:UNUSED_PAD src0_sel:DWORD src1_sel:WORD_1
	v_fma_f16 v86, v84, v90, -v86
	v_mul_f16_sdwa v84, v84, v90 dst_sel:DWORD dst_unused:UNUSED_PAD src0_sel:DWORD src1_sel:WORD_1
	v_fma_f16 v38, v38, v90, v84
	v_lshrrev_b32_e32 v84, 16, v30
	v_pack_b32_f16 v38, v86, v38
	s_waitcnt vmcnt(5)
	v_mul_f16_sdwa v86, v84, v91 dst_sel:DWORD dst_unused:UNUSED_PAD src0_sel:DWORD src1_sel:WORD_1
	v_fma_f16 v86, v30, v91, -v86
	v_mul_f16_sdwa v30, v30, v91 dst_sel:DWORD dst_unused:UNUSED_PAD src0_sel:DWORD src1_sel:WORD_1
	v_fma_f16 v30, v84, v91, v30
	v_pack_b32_f16 v30, v86, v30
	v_lshrrev_b32_e32 v84, 16, v85
	ds_write2_b32 v50, v29, v30 offset0:156 offset1:234
	s_waitcnt vmcnt(4)
	v_mul_f16_sdwa v29, v84, v92 dst_sel:DWORD dst_unused:UNUSED_PAD src0_sel:DWORD src1_sel:WORD_1
	v_fma_f16 v86, v85, v92, -v29
	ds_read2_b32 v[29:30], v83 offset0:56 offset1:134
	v_mul_f16_sdwa v85, v85, v92 dst_sel:DWORD dst_unused:UNUSED_PAD src0_sel:DWORD src1_sel:WORD_1
	v_fma_f16 v84, v84, v92, v85
	v_pack_b32_f16 v84, v86, v84
	ds_write2_b32 v82, v38, v84 offset0:112 offset1:190
	ds_read2_b32 v[84:85], v39 offset0:12 offset1:90
	s_waitcnt lgkmcnt(2)
	v_lshrrev_b32_e32 v38, 16, v29
	s_waitcnt vmcnt(3)
	v_mul_f16_sdwa v86, v38, v93 dst_sel:DWORD dst_unused:UNUSED_PAD src0_sel:DWORD src1_sel:WORD_1
	v_fma_f16 v86, v29, v93, -v86
	v_mul_f16_sdwa v29, v29, v93 dst_sel:DWORD dst_unused:UNUSED_PAD src0_sel:DWORD src1_sel:WORD_1
	v_fma_f16 v29, v38, v93, v29
	s_waitcnt lgkmcnt(0)
	v_lshrrev_b32_e32 v38, 16, v84
	v_pack_b32_f16 v29, v86, v29
	s_waitcnt vmcnt(2)
	v_mul_f16_sdwa v86, v38, v94 dst_sel:DWORD dst_unused:UNUSED_PAD src0_sel:DWORD src1_sel:WORD_1
	v_fma_f16 v86, v84, v94, -v86
	v_mul_f16_sdwa v84, v84, v94 dst_sel:DWORD dst_unused:UNUSED_PAD src0_sel:DWORD src1_sel:WORD_1
	v_fma_f16 v38, v38, v94, v84
	v_lshrrev_b32_e32 v84, 16, v30
	v_pack_b32_f16 v38, v86, v38
	s_waitcnt vmcnt(1)
	v_mul_f16_sdwa v86, v84, v95 dst_sel:DWORD dst_unused:UNUSED_PAD src0_sel:DWORD src1_sel:WORD_1
	v_fma_f16 v86, v30, v95, -v86
	v_mul_f16_sdwa v30, v30, v95 dst_sel:DWORD dst_unused:UNUSED_PAD src0_sel:DWORD src1_sel:WORD_1
	v_fma_f16 v30, v84, v95, v30
	v_pack_b32_f16 v30, v86, v30
	ds_write2_b32 v83, v29, v30 offset0:56 offset1:134
	v_lshrrev_b32_e32 v29, 16, v85
	s_waitcnt vmcnt(0)
	v_mul_f16_sdwa v30, v29, v96 dst_sel:DWORD dst_unused:UNUSED_PAD src0_sel:DWORD src1_sel:WORD_1
	v_mul_f16_sdwa v84, v85, v96 dst_sel:DWORD dst_unused:UNUSED_PAD src0_sel:DWORD src1_sel:WORD_1
	v_fma_f16 v30, v85, v96, -v30
	v_fma_f16 v29, v29, v96, v84
	v_pack_b32_f16 v29, v30, v29
	ds_write2_b32 v39, v38, v29 offset0:12 offset1:90
	s_waitcnt lgkmcnt(0)
	s_barrier
	ds_read2_b32 v[29:30], v50 offset1:78
	ds_read2_b32 v[84:85], v40 offset0:84 offset1:162
	ds_read2_b32 v[88:89], v50 offset0:156 offset1:234
	;; [unrolled: 1-line block ×3, first 2 shown]
	s_waitcnt lgkmcnt(2)
	v_pk_add_f16 v87, v29, v84 neg_lo:[0,1] neg_hi:[0,1]
	v_pk_add_f16 v85, v30, v85 neg_lo:[0,1] neg_hi:[0,1]
	v_pk_fma_f16 v86, v29, 2.0, v87 op_sel_hi:[1,0,1] neg_lo:[0,0,1] neg_hi:[0,0,1]
	v_pk_fma_f16 v84, v30, 2.0, v85 op_sel_hi:[1,0,1] neg_lo:[0,0,1] neg_hi:[0,0,1]
	ds_read2_b32 v[29:30], v83 offset0:56 offset1:134
	ds_read2_b32 v[92:93], v39 offset0:12 offset1:90
	s_waitcnt lgkmcnt(2)
	v_pk_add_f16 v95, v88, v90 neg_lo:[0,1] neg_hi:[0,1]
	v_pk_add_f16 v90, v89, v91 neg_lo:[0,1] neg_hi:[0,1]
	v_pk_fma_f16 v94, v88, 2.0, v95 op_sel_hi:[1,0,1] neg_lo:[0,0,1] neg_hi:[0,0,1]
	v_pk_fma_f16 v89, v89, 2.0, v90 op_sel_hi:[1,0,1] neg_lo:[0,0,1] neg_hi:[0,0,1]
	s_waitcnt lgkmcnt(0)
	v_pk_add_f16 v92, v29, v92 neg_lo:[0,1] neg_hi:[0,1]
	v_pk_add_f16 v97, v30, v93 neg_lo:[0,1] neg_hi:[0,1]
	v_pk_fma_f16 v91, v29, 2.0, v92 op_sel_hi:[1,0,1] neg_lo:[0,0,1] neg_hi:[0,0,1]
	v_pk_fma_f16 v96, v30, 2.0, v97 op_sel_hi:[1,0,1] neg_lo:[0,0,1] neg_hi:[0,0,1]
	s_barrier
	ds_write_b64 v31, v[86:87]
	ds_write_b64 v34, v[84:85]
	;; [unrolled: 1-line block ×6, first 2 shown]
	s_waitcnt lgkmcnt(0)
	s_barrier
	ds_read2_b32 v[33:34], v50 offset1:78
	ds_read2_b32 v[29:30], v40 offset0:84 offset1:162
	ds_read2_b32 v[35:36], v82 offset0:112 offset1:190
	;; [unrolled: 1-line block ×5, first 2 shown]
	s_waitcnt lgkmcnt(5)
	v_lshrrev_b32_e32 v31, 16, v33
	s_waitcnt lgkmcnt(4)
	v_lshrrev_b32_e32 v84, 16, v29
	v_mul_f16_sdwa v93, v32, v84 dst_sel:DWORD dst_unused:UNUSED_PAD src0_sel:WORD_1 src1_sel:DWORD
	v_lshrrev_b32_e32 v86, 16, v30
	v_fma_f16 v93, v32, v29, v93
	v_mul_f16_sdwa v29, v32, v29 dst_sel:DWORD dst_unused:UNUSED_PAD src0_sel:WORD_1 src1_sel:DWORD
	v_fma_f16 v29, v32, v84, -v29
	v_mul_f16_sdwa v84, v32, v86 dst_sel:DWORD dst_unused:UNUSED_PAD src0_sel:WORD_1 src1_sel:DWORD
	s_waitcnt lgkmcnt(3)
	v_lshrrev_b32_e32 v88, 16, v35
	v_fma_f16 v98, v32, v30, v84
	v_mul_f16_sdwa v30, v32, v30 dst_sel:DWORD dst_unused:UNUSED_PAD src0_sel:WORD_1 src1_sel:DWORD
	v_fma_f16 v86, v32, v86, -v30
	v_mul_f16_sdwa v30, v32, v88 dst_sel:DWORD dst_unused:UNUSED_PAD src0_sel:WORD_1 src1_sel:DWORD
	v_lshrrev_b32_e32 v89, 16, v36
	v_fma_f16 v99, v32, v35, v30
	v_mul_f16_sdwa v30, v32, v35 dst_sel:DWORD dst_unused:UNUSED_PAD src0_sel:WORD_1 src1_sel:DWORD
	v_fma_f16 v88, v32, v88, -v30
	v_mul_f16_sdwa v30, v32, v89 dst_sel:DWORD dst_unused:UNUSED_PAD src0_sel:WORD_1 src1_sel:DWORD
	s_waitcnt lgkmcnt(0)
	v_lshrrev_b32_e32 v91, 16, v39
	v_fma_f16 v100, v32, v36, v30
	v_mul_f16_sdwa v30, v32, v36 dst_sel:DWORD dst_unused:UNUSED_PAD src0_sel:WORD_1 src1_sel:DWORD
	v_fma_f16 v101, v32, v89, -v30
	v_mul_f16_sdwa v30, v32, v91 dst_sel:DWORD dst_unused:UNUSED_PAD src0_sel:WORD_1 src1_sel:DWORD
	v_lshrrev_b32_e32 v92, 16, v40
	v_fma_f16 v102, v32, v39, v30
	v_mul_f16_sdwa v30, v32, v39 dst_sel:DWORD dst_unused:UNUSED_PAD src0_sel:WORD_1 src1_sel:DWORD
	v_fma_f16 v39, v32, v91, -v30
	v_mul_f16_sdwa v30, v32, v92 dst_sel:DWORD dst_unused:UNUSED_PAD src0_sel:WORD_1 src1_sel:DWORD
	v_fma_f16 v103, v32, v40, v30
	v_mul_f16_sdwa v30, v32, v40 dst_sel:DWORD dst_unused:UNUSED_PAD src0_sel:WORD_1 src1_sel:DWORD
	v_lshrrev_b32_e32 v85, 16, v34
	v_lshrrev_b32_e32 v87, 16, v37
	v_fma_f16 v104, v32, v92, -v30
	v_sub_f16_e32 v92, v31, v29
	v_sub_f16_e32 v36, v34, v98
	;; [unrolled: 1-line block ×3, first 2 shown]
	v_lshrrev_b32_e32 v90, 16, v38
	v_lshrrev_b32_e32 v94, 16, v95
	;; [unrolled: 1-line block ×3, first 2 shown]
	v_sub_f16_e32 v30, v33, v93
	v_fma_f16 v84, v31, 2.0, -v92
	v_sub_f16_e32 v89, v85, v86
	v_fma_f16 v35, v34, 2.0, -v36
	v_sub_f16_e32 v34, v37, v99
	v_sub_f16_e32 v86, v87, v88
	v_fma_f16 v31, v38, 2.0, -v32
	v_sub_f16_e32 v38, v95, v102
	v_fma_f16 v29, v33, 2.0, -v30
	v_fma_f16 v33, v37, 2.0, -v34
	;; [unrolled: 1-line block ×3, first 2 shown]
	v_sub_f16_e32 v87, v90, v101
	v_sub_f16_e32 v93, v94, v39
	v_fma_f16 v37, v95, 2.0, -v38
	v_sub_f16_e32 v40, v96, v103
	v_sub_f16_e32 v95, v97, v104
	v_fma_f16 v91, v85, 2.0, -v89
	v_fma_f16 v85, v90, 2.0, -v87
	;; [unrolled: 1-line block ×5, first 2 shown]
	v_pack_b32_f16 v96, v29, v84
	v_pack_b32_f16 v97, v30, v92
	s_barrier
	ds_write2_b32 v58, v96, v97 offset1:2
	v_pack_b32_f16 v58, v35, v91
	v_pack_b32_f16 v96, v36, v89
	ds_write2_b32 v59, v58, v96 offset1:2
	v_pack_b32_f16 v58, v33, v88
	v_pack_b32_f16 v59, v34, v86
	;; [unrolled: 3-line block ×5, first 2 shown]
	ds_write2_b32 v63, v58, v59 offset1:2
	s_waitcnt lgkmcnt(0)
	s_barrier
	s_and_saveexec_b64 s[0:1], vcc
	s_cbranch_execz .LBB0_7
; %bb.6:
	v_add_u32_e32 v39, 0xa00, v50
	ds_read2_b32 v[29:30], v50 offset1:72
	ds_read2_b32 v[35:36], v50 offset0:144 offset1:216
	ds_read2_b32 v[33:34], v83 offset0:32 offset1:104
	;; [unrolled: 1-line block ×5, first 2 shown]
	ds_read_b32 v76, v50 offset:3456
	s_waitcnt lgkmcnt(6)
	v_lshrrev_b32_e32 v84, 16, v29
	v_lshrrev_b32_e32 v92, 16, v30
	s_waitcnt lgkmcnt(5)
	v_lshrrev_b32_e32 v91, 16, v35
	v_lshrrev_b32_e32 v89, 16, v36
	;; [unrolled: 3-line block ×6, first 2 shown]
	s_waitcnt lgkmcnt(0)
	v_lshrrev_b32_e32 v77, 16, v76
.LBB0_7:
	s_or_b64 exec, exec, s[0:1]
	v_add_u32_e32 v59, 0x270, v50
	v_add_u32_e32 v58, 0x3a8, v50
	s_barrier
	s_and_saveexec_b64 s[0:1], vcc
	s_cbranch_execz .LBB0_9
; %bb.8:
	v_mul_f16_sdwa v61, v11, v77 dst_sel:DWORD dst_unused:UNUSED_PAD src0_sel:WORD_1 src1_sel:DWORD
	v_mul_f16_sdwa v60, v4, v92 dst_sel:DWORD dst_unused:UNUSED_PAD src0_sel:WORD_1 src1_sel:DWORD
	v_fma_f16 v61, v11, v76, v61
	v_mul_f16_sdwa v76, v11, v76 dst_sel:DWORD dst_unused:UNUSED_PAD src0_sel:WORD_1 src1_sel:DWORD
	v_fma_f16 v60, v4, v30, v60
	v_fma_f16 v11, v11, v77, -v76
	v_mul_f16_sdwa v30, v4, v30 dst_sel:DWORD dst_unused:UNUSED_PAD src0_sel:WORD_1 src1_sel:DWORD
	v_mul_f16_sdwa v77, v5, v91 dst_sel:DWORD dst_unused:UNUSED_PAD src0_sel:WORD_1 src1_sel:DWORD
	;; [unrolled: 1-line block ×3, first 2 shown]
	v_sub_f16_e32 v62, v60, v61
	v_fma_f16 v4, v4, v92, -v30
	v_fma_f16 v77, v5, v35, v77
	v_fma_f16 v82, v10, v40, v82
	v_mul_f16_sdwa v40, v10, v40 dst_sel:DWORD dst_unused:UNUSED_PAD src0_sel:WORD_1 src1_sel:DWORD
	v_mul_f16_sdwa v35, v5, v35 dst_sel:DWORD dst_unused:UNUSED_PAD src0_sel:WORD_1 src1_sel:DWORD
	v_mul_f16_e32 v63, 0xba95, v62
	v_add_f16_e32 v30, v11, v4
	s_movk_i32 s4, 0x388b
	v_sub_f16_e32 v83, v77, v82
	v_fma_f16 v10, v10, v95, -v40
	v_fma_f16 v5, v5, v91, -v35
	v_fma_f16 v76, v30, s4, v63
	v_mul_f16_e32 v92, 0xbb7b, v83
	v_add_f16_e32 v35, v10, v5
	s_mov_b32 s6, 0xb5ac
	v_add_f16_e32 v76, v84, v76
	v_fma_f16 v40, v35, s6, v92
	v_add_f16_e32 v40, v40, v76
	v_mul_f16_sdwa v76, v6, v89 dst_sel:DWORD dst_unused:UNUSED_PAD src0_sel:WORD_1 src1_sel:DWORD
	v_mul_f16_sdwa v91, v9, v94 dst_sel:DWORD dst_unused:UNUSED_PAD src0_sel:WORD_1 src1_sel:DWORD
	v_fma_f16 v76, v6, v36, v76
	v_fma_f16 v91, v9, v39, v91
	v_mul_f16_sdwa v39, v9, v39 dst_sel:DWORD dst_unused:UNUSED_PAD src0_sel:WORD_1 src1_sel:DWORD
	v_mul_f16_sdwa v36, v6, v36 dst_sel:DWORD dst_unused:UNUSED_PAD src0_sel:WORD_1 src1_sel:DWORD
	v_sub_f16_e32 v95, v76, v91
	v_fma_f16 v9, v9, v94, -v39
	v_fma_f16 v6, v6, v89, -v36
	v_mul_f16_e32 v96, 0xb3a8, v95
	v_add_f16_e32 v36, v9, v6
	s_mov_b32 s12, 0xbbc4
	v_fma_f16 v39, v36, s12, v96
	v_add_f16_e32 v39, v39, v40
	v_mul_f16_sdwa v40, v7, v88 dst_sel:DWORD dst_unused:UNUSED_PAD src0_sel:WORD_1 src1_sel:DWORD
	v_mul_f16_sdwa v89, v8, v93 dst_sel:DWORD dst_unused:UNUSED_PAD src0_sel:WORD_1 src1_sel:DWORD
	v_fma_f16 v40, v7, v33, v40
	v_fma_f16 v89, v8, v38, v89
	v_mul_f16_sdwa v38, v8, v38 dst_sel:DWORD dst_unused:UNUSED_PAD src0_sel:WORD_1 src1_sel:DWORD
	v_mul_f16_sdwa v33, v7, v33 dst_sel:DWORD dst_unused:UNUSED_PAD src0_sel:WORD_1 src1_sel:DWORD
	v_sub_f16_e32 v94, v40, v89
	v_fma_f16 v8, v8, v93, -v38
	v_fma_f16 v7, v7, v88, -v33
	v_mul_f16_e32 v97, 0x394e, v94
	v_add_f16_e32 v33, v8, v7
	s_mov_b32 s14, 0xb9fd
	v_fma_f16 v38, v33, s14, v97
	v_add_f16_e32 v38, v38, v39
	v_mul_f16_sdwa v39, v0, v86 dst_sel:DWORD dst_unused:UNUSED_PAD src0_sel:WORD_1 src1_sel:DWORD
	v_mul_f16_sdwa v88, v3, v90 dst_sel:DWORD dst_unused:UNUSED_PAD src0_sel:WORD_1 src1_sel:DWORD
	v_fma_f16 v39, v0, v34, v39
	v_fma_f16 v88, v3, v37, v88
	v_mul_f16_sdwa v37, v3, v37 dst_sel:DWORD dst_unused:UNUSED_PAD src0_sel:WORD_1 src1_sel:DWORD
	v_mul_f16_sdwa v34, v0, v34 dst_sel:DWORD dst_unused:UNUSED_PAD src0_sel:WORD_1 src1_sel:DWORD
	v_sub_f16_e32 v93, v39, v88
	v_fma_f16 v3, v3, v90, -v37
	v_fma_f16 v0, v0, v86, -v34
	v_mul_f16_e32 v98, 0x3bf1, v93
	v_add_f16_e32 v34, v3, v0
	s_movk_i32 s15, 0x2fb7
	v_fma_f16 v37, v34, s15, v98
	v_add_f16_e32 v37, v37, v38
	v_mul_f16_sdwa v38, v1, v85 dst_sel:DWORD dst_unused:UNUSED_PAD src0_sel:WORD_1 src1_sel:DWORD
	v_mul_f16_sdwa v86, v2, v87 dst_sel:DWORD dst_unused:UNUSED_PAD src0_sel:WORD_1 src1_sel:DWORD
	v_fma_f16 v38, v1, v31, v38
	v_fma_f16 v86, v2, v32, v86
	v_mul_f16_sdwa v32, v2, v32 dst_sel:DWORD dst_unused:UNUSED_PAD src0_sel:WORD_1 src1_sel:DWORD
	v_mul_f16_sdwa v31, v1, v31 dst_sel:DWORD dst_unused:UNUSED_PAD src0_sel:WORD_1 src1_sel:DWORD
	v_sub_f16_e32 v90, v38, v86
	v_fma_f16 v2, v2, v87, -v32
	v_fma_f16 v1, v1, v85, -v31
	v_mul_f16_e32 v99, 0x3770, v90
	v_add_f16_e32 v31, v2, v1
	s_movk_i32 s16, 0x3b15
	v_fma_f16 v32, v31, s16, v99
	v_sub_f16_e32 v85, v4, v11
	v_add_f16_e32 v32, v32, v37
	v_add_f16_e32 v37, v61, v60
	v_mul_f16_e32 v87, 0xba95, v85
	v_sub_f16_e32 v102, v5, v10
	v_fma_f16 v100, v37, s4, -v87
	v_add_f16_e32 v101, v82, v77
	v_mul_f16_e32 v103, 0xbb7b, v102
	v_add_f16_e32 v100, v29, v100
	v_fma_f16 v104, v101, s6, -v103
	v_sub_f16_e32 v105, v6, v9
	v_add_f16_e32 v100, v104, v100
	v_add_f16_e32 v104, v91, v76
	v_mul_f16_e32 v106, 0xb3a8, v105
	v_fma_f16 v107, v104, s12, -v106
	v_sub_f16_e32 v108, v7, v8
	v_add_f16_e32 v100, v107, v100
	v_add_f16_e32 v107, v89, v40
	v_mul_f16_e32 v109, 0x394e, v108
	;; [unrolled: 5-line block ×4, first 2 shown]
	v_fma_f16 v116, v113, s16, -v115
	v_add_f16_e32 v100, v116, v100
	v_mul_f16_e32 v116, 0xbbf1, v62
	v_fma_f16 v117, v30, s15, v116
	v_mul_f16_e32 v118, 0xb3a8, v83
	v_add_f16_e32 v117, v84, v117
	v_fma_f16 v119, v35, s12, v118
	v_add_f16_e32 v117, v119, v117
	v_mul_f16_e32 v119, 0x3b7b, v95
	v_fma_f16 v120, v36, s6, v119
	v_add_f16_e32 v117, v120, v117
	v_mul_f16_e32 v120, 0x3770, v94
	;; [unrolled: 3-line block ×5, first 2 shown]
	v_fma_f16 v124, v37, s15, -v123
	v_mul_f16_e32 v125, 0xb3a8, v102
	v_add_f16_e32 v124, v29, v124
	v_fma_f16 v126, v101, s12, -v125
	v_add_f16_e32 v124, v126, v124
	v_mul_f16_e32 v126, 0x3b7b, v105
	v_fma_f16 v127, v104, s6, -v126
	v_add_f16_e32 v124, v127, v124
	v_mul_f16_e32 v127, 0x3770, v108
	;; [unrolled: 3-line block ×5, first 2 shown]
	v_fma_f16 v131, v30, s6, v130
	v_mul_f16_e32 v132, 0x394e, v83
	v_add_f16_e32 v131, v84, v131
	v_fma_f16 v133, v35, s14, v132
	v_add_f16_e32 v131, v133, v131
	v_mul_f16_e32 v133, 0x3770, v95
	v_fma_f16 v134, v36, s16, v133
	v_add_f16_e32 v131, v134, v131
	v_mul_f16_e32 v134, 0xbbf1, v94
	;; [unrolled: 3-line block ×5, first 2 shown]
	v_fma_f16 v138, v37, s6, -v137
	v_mul_f16_e32 v139, 0x394e, v102
	v_add_f16_e32 v138, v29, v138
	v_fma_f16 v140, v101, s14, -v139
	v_add_f16_e32 v138, v140, v138
	v_mul_f16_e32 v140, 0x3770, v105
	v_fma_f16 v141, v104, s16, -v140
	v_add_f16_e32 v138, v141, v138
	v_mul_f16_e32 v141, 0xbbf1, v108
	;; [unrolled: 3-line block ×5, first 2 shown]
	v_fma_f16 v145, v30, s14, v144
	v_mul_f16_e32 v146, 0x3bf1, v83
	v_add_f16_e32 v145, v84, v145
	v_fma_f16 v147, v35, s15, v146
	v_add_f16_e32 v145, v147, v145
	v_mul_f16_e32 v147, 0xba95, v95
	v_fma_f16 v148, v36, s4, v147
	v_add_f16_e32 v145, v148, v145
	v_mul_f16_e32 v148, 0x33a8, v94
	v_fma_f16 v149, v33, s12, v148
	v_add_f16_e32 v145, v149, v145
	v_mul_f16_e32 v149, 0x3770, v93
	v_fma_f16 v150, v34, s16, v149
	v_add_f16_e32 v145, v150, v145
	v_mul_f16_e32 v150, 0xbb7b, v90
	v_fma_f16 v151, v31, s6, v150
	v_add_f16_e32 v145, v151, v145
	v_mul_f16_e32 v151, 0xb94e, v85
	v_fma_f16 v152, v37, s14, -v151
	v_mul_f16_e32 v153, 0x3bf1, v102
	v_add_f16_e32 v152, v29, v152
	v_fma_f16 v154, v101, s15, -v153
	v_add_f16_e32 v152, v154, v152
	v_mul_f16_e32 v154, 0xba95, v105
	v_fma_f16 v155, v104, s4, -v154
	v_add_f16_e32 v152, v155, v152
	v_mul_f16_e32 v155, 0x33a8, v108
	v_fma_f16 v63, v30, s4, -v63
	v_fma_f16 v156, v107, s12, -v155
	v_add_f16_e32 v63, v84, v63
	v_fma_f16 v92, v35, s6, -v92
	v_add_f16_e32 v152, v156, v152
	v_mul_f16_e32 v156, 0x3770, v111
	v_add_f16_e32 v63, v92, v63
	v_fma_f16 v92, v36, s12, -v96
	v_fma_f16 v157, v110, s16, -v156
	v_add_f16_e32 v63, v92, v63
	v_fma_f16 v92, v33, s14, -v97
	v_add_f16_e32 v152, v157, v152
	v_mul_f16_e32 v157, 0xbb7b, v114
	v_add_f16_e32 v63, v92, v63
	v_fma_f16 v92, v34, s15, -v98
	v_fma_f16 v158, v113, s6, -v157
	v_add_f16_e32 v63, v92, v63
	v_fma_f16 v92, v31, s16, -v99
	v_fma_f16 v87, v37, s4, v87
	v_add_f16_e32 v152, v158, v152
	v_mul_f16_e32 v158, 0xb3a8, v62
	v_add_f16_e32 v63, v92, v63
	v_add_f16_e32 v87, v29, v87
	v_fma_f16 v92, v101, s6, v103
	v_fma_f16 v159, v30, s12, v158
	v_mul_f16_e32 v160, 0x3770, v83
	v_add_f16_e32 v87, v92, v87
	v_fma_f16 v92, v104, s12, v106
	v_add_f16_e32 v159, v84, v159
	v_fma_f16 v161, v35, s16, v160
	;; [unrolled: 2-line block ×3, first 2 shown]
	v_add_f16_e32 v159, v161, v159
	v_mul_f16_e32 v161, 0xb94e, v95
	v_add_f16_e32 v87, v92, v87
	v_fma_f16 v92, v110, s15, v112
	s_movk_i32 s21, 0x3770
	v_fma_f16 v162, v36, s14, v161
	v_fma_f16 v158, v30, s12, -v158
	v_fma_f16 v144, v30, s14, -v144
	;; [unrolled: 1-line block ×4, first 2 shown]
	v_add_f16_e32 v87, v92, v87
	v_fma_f16 v92, v113, s16, v115
	v_mul_f16_e32 v30, 0x3b15, v30
	s_movk_i32 s24, 0x3a95
	v_add_f16_e32 v159, v162, v159
	v_mul_f16_e32 v162, 0x3a95, v94
	v_add_f16_e32 v158, v84, v158
	v_fma_f16 v160, v35, s16, -v160
	v_add_f16_e32 v144, v84, v144
	v_fma_f16 v146, v35, s15, -v146
	;; [unrolled: 2-line block ×4, first 2 shown]
	v_add_f16_e32 v87, v92, v87
	v_fma_f16 v92, v62, s21, v30
	v_mul_f16_e32 v35, 0x388b, v35
	v_add_f16_e32 v4, v4, v84
	s_movk_i32 s19, 0x3bf1
	v_fma_f16 v163, v33, s4, v162
	v_add_f16_e32 v158, v160, v158
	v_fma_f16 v160, v36, s14, -v161
	v_add_f16_e32 v144, v146, v144
	v_fma_f16 v146, v36, s4, -v147
	;; [unrolled: 2-line block ×4, first 2 shown]
	v_add_f16_e32 v92, v84, v92
	v_fma_f16 v96, v83, s24, v35
	v_mul_f16_e32 v36, 0x2fb7, v36
	v_add_f16_e32 v4, v5, v4
	s_movk_i32 s22, 0x3b7b
	v_add_f16_e32 v159, v163, v159
	v_mul_f16_e32 v163, 0xbb7b, v93
	v_add_f16_e32 v158, v160, v158
	v_fma_f16 v160, v33, s4, -v162
	v_add_f16_e32 v144, v146, v144
	v_fma_f16 v146, v33, s12, -v148
	;; [unrolled: 2-line block ×4, first 2 shown]
	v_add_f16_e32 v92, v96, v92
	v_fma_f16 v96, v95, s19, v36
	v_mul_f16_e32 v33, 0xb5ac, v33
	v_add_f16_e32 v4, v6, v4
	s_movk_i32 s17, 0x394e
	v_fma_f16 v164, v34, s6, v163
	v_add_f16_e32 v158, v160, v158
	v_fma_f16 v160, v34, s6, -v163
	v_add_f16_e32 v144, v146, v144
	v_fma_f16 v146, v34, s16, -v149
	v_add_f16_e32 v130, v132, v130
	v_fma_f16 v132, v34, s12, -v135
	v_add_f16_e32 v116, v118, v116
	v_fma_f16 v118, v34, s4, -v121
	v_add_f16_e32 v92, v96, v92
	v_fma_f16 v96, v94, s22, v33
	v_mul_f16_e32 v34, 0xb9fd, v34
	v_add_f16_e32 v4, v7, v4
	v_add_f16_e32 v159, v164, v159
	v_mul_f16_e32 v164, 0x3bf1, v90
	v_add_f16_e32 v92, v96, v92
	v_fma_f16 v96, v93, s17, v34
	s_mov_b32 s17, 0xb770
	v_add_f16_e32 v0, v0, v4
	s_mov_b32 s5, 0xba95
	s_movk_i32 s23, 0x33a8
	v_fma_f16 v165, v31, s15, v164
	v_add_f16_e32 v158, v160, v158
	v_fma_f16 v160, v31, s15, -v164
	v_add_f16_e32 v144, v146, v144
	v_fma_f16 v146, v31, s6, -v150
	;; [unrolled: 2-line block ×4, first 2 shown]
	v_mul_f16_e32 v31, 0xbbc4, v31
	v_add_f16_e32 v0, v1, v0
	v_fma_f16 v1, v62, s17, v30
	s_mov_b32 s18, 0xbbf1
	v_add_f16_e32 v159, v165, v159
	v_mul_f16_e32 v165, 0xb3a8, v85
	v_add_f16_e32 v92, v96, v92
	v_fma_f16 v96, v90, s23, v31
	v_mul_f16_e32 v85, 0xb770, v85
	v_add_f16_e32 v0, v2, v0
	v_add_f16_e32 v1, v84, v1
	v_fma_f16 v2, v83, s5, v35
	s_mov_b32 s7, 0xbb7b
	v_add_f16_e32 v92, v96, v92
	v_fma_f16 v96, v37, s16, v85
	v_mul_f16_e32 v97, 0xba95, v102
	v_add_f16_e32 v60, v29, v60
	v_add_f16_e32 v1, v2, v1
	v_fma_f16 v2, v95, s18, v36
	s_mov_b32 s20, 0xb94e
	v_add_f16_e32 v96, v29, v96
	v_fma_f16 v98, v101, s4, v97
	v_add_f16_e32 v60, v77, v60
	v_add_f16_e32 v1, v2, v1
	v_fma_f16 v2, v94, s7, v33
	s_mov_b32 s13, 0xb3a8
	v_add_f16_e32 v96, v98, v96
	v_mul_f16_e32 v98, 0xbbf1, v105
	v_add_f16_e32 v60, v76, v60
	v_add_f16_e32 v1, v2, v1
	v_fma_f16 v2, v93, s20, v34
	v_fma_f16 v99, v104, s15, v98
	v_add_f16_e32 v40, v40, v60
	v_add_f16_e32 v1, v2, v1
	v_fma_f16 v2, v90, s13, v31
	v_fma_f16 v166, v37, s12, -v165
	v_mul_f16_e32 v167, 0x3770, v102
	v_add_f16_e32 v96, v99, v96
	v_mul_f16_e32 v99, 0xbb7b, v108
	v_add_f16_e32 v39, v39, v40
	v_add_f16_e32 v1, v2, v1
	v_fma_f16 v2, v37, s16, -v85
	v_add_f16_e32 v166, v29, v166
	v_fma_f16 v168, v101, s16, -v167
	v_fma_f16 v102, v107, s6, v99
	v_add_f16_e32 v38, v38, v39
	v_add_f16_e32 v0, v3, v0
	;; [unrolled: 1-line block ×3, first 2 shown]
	v_fma_f16 v3, v101, s4, -v97
	v_add_f16_e32 v166, v168, v166
	v_mul_f16_e32 v168, 0xb94e, v105
	v_add_f16_e32 v116, v118, v116
	v_fma_f16 v118, v37, s15, v123
	v_add_f16_e32 v96, v102, v96
	v_mul_f16_e32 v102, 0xb94e, v111
	v_add_f16_e32 v38, v86, v38
	v_add_f16_e32 v2, v3, v2
	v_fma_f16 v3, v104, s15, -v98
	v_fma_f16 v169, v104, s14, -v168
	v_add_f16_e32 v144, v146, v144
	v_fma_f16 v146, v37, s14, v151
	v_add_f16_e32 v130, v132, v130
	v_fma_f16 v132, v37, s6, v137
	;; [unrolled: 2-line block ×3, first 2 shown]
	v_fma_f16 v103, v110, s14, v102
	v_add_f16_e32 v38, v88, v38
	v_add_f16_e32 v2, v3, v2
	v_fma_f16 v3, v107, s6, -v99
	v_add_f16_e32 v166, v169, v166
	v_mul_f16_e32 v169, 0x3a95, v108
	v_add_f16_e32 v158, v160, v158
	v_fma_f16 v160, v37, s12, v165
	v_add_f16_e32 v146, v29, v146
	v_fma_f16 v147, v101, s15, v153
	;; [unrolled: 2-line block ×4, first 2 shown]
	v_add_f16_e32 v96, v103, v96
	v_mul_f16_e32 v103, 0xb3a8, v114
	v_add_f16_e32 v38, v89, v38
	v_add_f16_e32 v0, v8, v0
	;; [unrolled: 1-line block ×3, first 2 shown]
	v_fma_f16 v3, v110, s14, -v102
	v_fma_f16 v170, v107, s4, -v169
	v_add_f16_e32 v160, v29, v160
	v_fma_f16 v161, v101, s16, v167
	v_add_f16_e32 v146, v147, v146
	v_fma_f16 v147, v104, s4, v154
	;; [unrolled: 2-line block ×4, first 2 shown]
	v_add_f16_e32 v38, v91, v38
	v_add_f16_e32 v0, v9, v0
	;; [unrolled: 1-line block ×3, first 2 shown]
	v_fma_f16 v3, v113, s12, -v103
	v_add_f16_e32 v166, v170, v166
	v_mul_f16_e32 v170, 0xbb7b, v111
	v_add_f16_e32 v160, v161, v160
	v_fma_f16 v161, v104, s14, v168
	v_add_f16_e32 v146, v147, v146
	v_fma_f16 v147, v107, s12, v155
	;; [unrolled: 2-line block ×4, first 2 shown]
	v_fma_f16 v105, v113, s12, v103
	v_add_f16_e32 v38, v82, v38
	v_add_f16_e32 v0, v10, v0
	v_add_f16_e32 v2, v3, v2
	v_mul_u32_u24_e32 v3, 52, v57
	v_fma_f16 v171, v110, s6, -v170
	v_add_f16_e32 v160, v161, v160
	v_fma_f16 v161, v107, s4, v169
	v_add_f16_e32 v146, v147, v146
	v_fma_f16 v147, v110, s16, v156
	;; [unrolled: 2-line block ×4, first 2 shown]
	v_add_f16_e32 v96, v105, v96
	v_add_f16_e32 v38, v61, v38
	;; [unrolled: 1-line block ×3, first 2 shown]
	v_or_b32_e32 v3, v3, v56
	v_add_f16_e32 v166, v171, v166
	v_mul_f16_e32 v171, 0x3bf1, v114
	v_add_f16_e32 v160, v161, v160
	v_fma_f16 v161, v110, s6, v170
	v_add_f16_e32 v146, v147, v146
	v_fma_f16 v147, v113, s6, v157
	;; [unrolled: 2-line block ×3, first 2 shown]
	v_add_f16_e32 v118, v119, v118
	v_lshl_add_u32 v3, v3, 2, v55
	v_pack_b32_f16 v0, v38, v0
	v_pack_b32_f16 v4, v96, v92
	v_fma_f16 v172, v113, s15, -v171
	v_add_f16_e32 v160, v161, v160
	v_fma_f16 v161, v113, s15, v171
	v_add_f16_e32 v146, v147, v146
	v_add_f16_e32 v132, v133, v132
	ds_write2_b32 v3, v0, v4 offset1:4
	v_pack_b32_f16 v0, v87, v63
	v_pack_b32_f16 v4, v118, v116
	v_add_f16_e32 v166, v172, v166
	v_add_f16_e32 v160, v161, v160
	ds_write2_b32 v3, v0, v4 offset0:8 offset1:12
	v_pack_b32_f16 v0, v132, v130
	v_pack_b32_f16 v4, v146, v144
	ds_write2_b32 v3, v0, v4 offset0:16 offset1:20
	v_pack_b32_f16 v0, v160, v158
	v_pack_b32_f16 v4, v166, v159
	;; [unrolled: 3-line block ×4, first 2 shown]
	ds_write2_b32 v3, v0, v4 offset0:40 offset1:44
	v_pack_b32_f16 v0, v2, v1
	ds_write_b32 v3, v0 offset:192
.LBB0_9:
	s_or_b64 exec, exec, s[0:1]
	v_add_u32_e32 v4, 0x600, v50
	s_waitcnt lgkmcnt(0)
	s_barrier
	ds_read2_b32 v[5:6], v50 offset1:78
	ds_read2_b32 v[7:8], v4 offset0:84 offset1:162
	ds_read2_b32 v[9:10], v50 offset0:156 offset1:234
	v_add_u32_e32 v3, 0x800, v50
	ds_read2_b32 v[29:30], v3 offset0:112 offset1:190
	v_add_u32_e32 v0, 0xc00, v50
	s_waitcnt lgkmcnt(2)
	v_lshrrev_b32_e32 v11, 16, v7
	v_mul_f16_sdwa v61, v67, v11 dst_sel:DWORD dst_unused:UNUSED_PAD src0_sel:WORD_1 src1_sel:DWORD
	v_lshrrev_b32_e32 v36, 16, v8
	v_fma_f16 v61, v67, v7, v61
	v_mul_f16_sdwa v7, v67, v7 dst_sel:DWORD dst_unused:UNUSED_PAD src0_sel:WORD_1 src1_sel:DWORD
	ds_read2_b32 v[33:34], v0 offset0:12 offset1:90
	v_fma_f16 v7, v67, v11, -v7
	v_mul_f16_sdwa v11, v66, v36 dst_sel:DWORD dst_unused:UNUSED_PAD src0_sel:WORD_1 src1_sel:DWORD
	s_waitcnt lgkmcnt(1)
	v_lshrrev_b32_e32 v38, 16, v29
	v_fma_f16 v11, v66, v8, v11
	v_mul_f16_sdwa v8, v66, v8 dst_sel:DWORD dst_unused:UNUSED_PAD src0_sel:WORD_1 src1_sel:DWORD
	v_fma_f16 v8, v66, v36, -v8
	v_mul_f16_sdwa v36, v65, v38 dst_sel:DWORD dst_unused:UNUSED_PAD src0_sel:WORD_1 src1_sel:DWORD
	v_lshrrev_b32_e32 v40, 16, v30
	v_fma_f16 v36, v65, v29, v36
	v_mul_f16_sdwa v29, v65, v29 dst_sel:DWORD dst_unused:UNUSED_PAD src0_sel:WORD_1 src1_sel:DWORD
	v_fma_f16 v29, v65, v38, -v29
	v_mul_f16_sdwa v38, v64, v40 dst_sel:DWORD dst_unused:UNUSED_PAD src0_sel:WORD_1 src1_sel:DWORD
	s_waitcnt lgkmcnt(0)
	v_lshrrev_b32_e32 v56, 16, v33
	v_fma_f16 v38, v64, v30, v38
	v_mul_f16_sdwa v30, v64, v30 dst_sel:DWORD dst_unused:UNUSED_PAD src0_sel:WORD_1 src1_sel:DWORD
	v_fma_f16 v30, v64, v40, -v30
	v_mul_f16_sdwa v40, v68, v56 dst_sel:DWORD dst_unused:UNUSED_PAD src0_sel:WORD_1 src1_sel:DWORD
	v_add_u32_e32 v2, 0x400, v50
	v_lshrrev_b32_e32 v60, 16, v34
	v_fma_f16 v40, v68, v33, v40
	v_mul_f16_sdwa v33, v68, v33 dst_sel:DWORD dst_unused:UNUSED_PAD src0_sel:WORD_1 src1_sel:DWORD
	ds_read2_b32 v[31:32], v2 offset0:56 offset1:134
	v_fma_f16 v33, v68, v56, -v33
	v_mul_f16_sdwa v56, v69, v60 dst_sel:DWORD dst_unused:UNUSED_PAD src0_sel:WORD_1 src1_sel:DWORD
	v_lshrrev_b32_e32 v1, 16, v5
	v_fma_f16 v56, v69, v34, v56
	v_mul_f16_sdwa v34, v69, v34 dst_sel:DWORD dst_unused:UNUSED_PAD src0_sel:WORD_1 src1_sel:DWORD
	v_lshrrev_b32_e32 v35, 16, v6
	v_fma_f16 v34, v69, v60, -v34
	v_sub_f16_e32 v60, v5, v61
	v_sub_f16_e32 v7, v1, v7
	v_lshrrev_b32_e32 v37, 16, v9
	v_fma_f16 v5, v5, 2.0, -v60
	v_fma_f16 v1, v1, 2.0, -v7
	v_sub_f16_e32 v11, v6, v11
	v_sub_f16_e32 v8, v35, v8
	v_lshrrev_b32_e32 v39, 16, v10
	v_fma_f16 v6, v6, 2.0, -v11
	v_fma_f16 v35, v35, 2.0, -v8
	v_sub_f16_e32 v36, v9, v36
	v_sub_f16_e32 v29, v37, v29
	v_pack_b32_f16 v1, v5, v1
	v_pack_b32_f16 v5, v60, v7
	s_waitcnt lgkmcnt(0)
	v_lshrrev_b32_e32 v55, 16, v31
	v_fma_f16 v9, v9, 2.0, -v36
	v_fma_f16 v37, v37, 2.0, -v29
	v_sub_f16_e32 v38, v10, v38
	v_sub_f16_e32 v30, v39, v30
	s_barrier
	ds_write2_b32 v70, v1, v5 offset1:52
	v_pack_b32_f16 v1, v6, v35
	v_pack_b32_f16 v5, v11, v8
	v_lshrrev_b32_e32 v57, 16, v32
	v_fma_f16 v10, v10, 2.0, -v38
	v_fma_f16 v39, v39, 2.0, -v30
	v_sub_f16_e32 v40, v31, v40
	v_sub_f16_e32 v33, v55, v33
	ds_write2_b32 v71, v1, v5 offset1:52
	v_pack_b32_f16 v1, v9, v37
	v_pack_b32_f16 v5, v36, v29
	v_fma_f16 v31, v31, 2.0, -v40
	v_fma_f16 v55, v55, 2.0, -v33
	v_sub_f16_e32 v56, v32, v56
	v_sub_f16_e32 v34, v57, v34
	ds_write2_b32 v72, v1, v5 offset1:52
	v_pack_b32_f16 v1, v10, v39
	v_pack_b32_f16 v5, v38, v30
	v_fma_f16 v32, v32, 2.0, -v56
	v_fma_f16 v57, v57, 2.0, -v34
	ds_write2_b32 v73, v1, v5 offset1:52
	v_pack_b32_f16 v1, v31, v55
	v_pack_b32_f16 v5, v40, v33
	ds_write2_b32 v74, v1, v5 offset1:52
	v_pack_b32_f16 v1, v32, v57
	v_pack_b32_f16 v5, v56, v34
	ds_write2_b32 v75, v1, v5 offset1:52
	s_waitcnt lgkmcnt(0)
	s_barrier
	ds_read2_b32 v[5:6], v50 offset1:78
	ds_read2_b32 v[7:8], v2 offset0:56 offset1:134
	ds_read2_b32 v[9:10], v3 offset0:112 offset1:190
	;; [unrolled: 1-line block ×5, first 2 shown]
	s_mov_b32 s0, 0xbaee
	s_waitcnt lgkmcnt(5)
	v_lshrrev_b32_e32 v1, 16, v5
	s_waitcnt lgkmcnt(4)
	v_lshrrev_b32_e32 v11, 16, v7
	v_mul_f16_sdwa v61, v13, v11 dst_sel:DWORD dst_unused:UNUSED_PAD src0_sel:WORD_1 src1_sel:DWORD
	s_waitcnt lgkmcnt(3)
	v_lshrrev_b32_e32 v35, 16, v9
	v_fma_f16 v61, v13, v7, v61
	v_mul_f16_sdwa v7, v13, v7 dst_sel:DWORD dst_unused:UNUSED_PAD src0_sel:WORD_1 src1_sel:DWORD
	v_fma_f16 v7, v13, v11, -v7
	v_mul_f16_sdwa v11, v14, v35 dst_sel:DWORD dst_unused:UNUSED_PAD src0_sel:WORD_1 src1_sel:DWORD
	v_lshrrev_b32_e32 v37, 16, v8
	v_lshrrev_b32_e32 v38, 16, v10
	v_fma_f16 v11, v14, v9, v11
	v_mul_f16_sdwa v9, v14, v9 dst_sel:DWORD dst_unused:UNUSED_PAD src0_sel:WORD_1 src1_sel:DWORD
	v_fma_f16 v9, v14, v35, -v9
	v_mul_f16_sdwa v13, v15, v37 dst_sel:DWORD dst_unused:UNUSED_PAD src0_sel:WORD_1 src1_sel:DWORD
	v_mul_f16_sdwa v14, v16, v38 dst_sel:DWORD dst_unused:UNUSED_PAD src0_sel:WORD_1 src1_sel:DWORD
	s_waitcnt lgkmcnt(1)
	v_lshrrev_b32_e32 v40, 16, v31
	v_fma_f16 v13, v15, v8, v13
	v_mul_f16_sdwa v8, v15, v8 dst_sel:DWORD dst_unused:UNUSED_PAD src0_sel:WORD_1 src1_sel:DWORD
	v_fma_f16 v14, v16, v10, v14
	v_mul_f16_sdwa v10, v16, v10 dst_sel:DWORD dst_unused:UNUSED_PAD src0_sel:WORD_1 src1_sel:DWORD
	s_waitcnt lgkmcnt(0)
	v_lshrrev_b32_e32 v55, 16, v33
	v_fma_f16 v8, v15, v37, -v8
	v_fma_f16 v10, v16, v38, -v10
	v_mul_f16_sdwa v15, v17, v40 dst_sel:DWORD dst_unused:UNUSED_PAD src0_sel:WORD_1 src1_sel:DWORD
	v_mul_f16_sdwa v16, v17, v31 dst_sel:DWORD dst_unused:UNUSED_PAD src0_sel:WORD_1 src1_sel:DWORD
	v_lshrrev_b32_e32 v57, 16, v32
	v_fma_f16 v15, v17, v31, v15
	v_fma_f16 v16, v17, v40, -v16
	v_mul_f16_sdwa v17, v18, v55 dst_sel:DWORD dst_unused:UNUSED_PAD src0_sel:WORD_1 src1_sel:DWORD
	v_mul_f16_sdwa v31, v18, v33 dst_sel:DWORD dst_unused:UNUSED_PAD src0_sel:WORD_1 src1_sel:DWORD
	v_fma_f16 v17, v18, v33, v17
	v_fma_f16 v18, v18, v55, -v31
	v_mul_f16_sdwa v31, v19, v57 dst_sel:DWORD dst_unused:UNUSED_PAD src0_sel:WORD_1 src1_sel:DWORD
	v_lshrrev_b32_e32 v60, 16, v34
	v_fma_f16 v31, v19, v32, v31
	v_mul_f16_sdwa v32, v19, v32 dst_sel:DWORD dst_unused:UNUSED_PAD src0_sel:WORD_1 src1_sel:DWORD
	v_fma_f16 v19, v19, v57, -v32
	v_mul_f16_sdwa v32, v20, v60 dst_sel:DWORD dst_unused:UNUSED_PAD src0_sel:WORD_1 src1_sel:DWORD
	v_fma_f16 v32, v20, v34, v32
	v_mul_f16_sdwa v33, v20, v34 dst_sel:DWORD dst_unused:UNUSED_PAD src0_sel:WORD_1 src1_sel:DWORD
	v_add_f16_e32 v34, v61, v11
	v_fma_f16 v20, v20, v60, -v33
	v_add_f16_e32 v33, v5, v61
	v_fma_f16 v5, v34, -0.5, v5
	v_sub_f16_e32 v34, v7, v9
	s_movk_i32 s1, 0x3aee
	v_fma_f16 v35, v34, s0, v5
	v_fma_f16 v5, v34, s1, v5
	v_add_f16_e32 v34, v1, v7
	v_add_f16_e32 v7, v7, v9
	;; [unrolled: 1-line block ×3, first 2 shown]
	v_fma_f16 v1, v7, -0.5, v1
	v_sub_f16_e32 v7, v61, v11
	v_add_f16_e32 v11, v13, v14
	v_lshrrev_b32_e32 v36, 16, v6
	v_add_f16_e32 v34, v34, v9
	v_fma_f16 v9, v7, s1, v1
	v_fma_f16 v1, v7, s0, v1
	v_add_f16_e32 v7, v6, v13
	v_fma_f16 v6, v11, -0.5, v6
	v_sub_f16_e32 v11, v8, v10
	v_fma_f16 v37, v11, s0, v6
	v_fma_f16 v6, v11, s1, v6
	v_add_f16_e32 v11, v36, v8
	v_add_f16_e32 v8, v8, v10
	;; [unrolled: 1-line block ×4, first 2 shown]
	v_fma_f16 v8, v8, -0.5, v36
	v_sub_f16_e32 v10, v13, v14
	v_add_f16_e32 v14, v15, v17
	v_lshrrev_b32_e32 v39, 16, v29
	v_fma_f16 v13, v10, s1, v8
	v_fma_f16 v8, v10, s0, v8
	v_add_f16_e32 v10, v29, v15
	v_fma_f16 v14, v14, -0.5, v29
	v_sub_f16_e32 v29, v16, v18
	v_fma_f16 v36, v29, s0, v14
	v_fma_f16 v14, v29, s1, v14
	v_add_f16_e32 v29, v39, v16
	v_add_f16_e32 v16, v16, v18
	;; [unrolled: 1-line block ×3, first 2 shown]
	v_fma_f16 v16, v16, -0.5, v39
	v_sub_f16_e32 v15, v15, v17
	v_add_f16_e32 v18, v31, v32
	v_lshrrev_b32_e32 v56, 16, v30
	v_add_f16_e32 v10, v10, v17
	v_fma_f16 v17, v15, s1, v16
	v_fma_f16 v15, v15, s0, v16
	v_add_f16_e32 v16, v30, v31
	v_fma_f16 v18, v18, -0.5, v30
	v_sub_f16_e32 v30, v19, v20
	v_fma_f16 v38, v30, s0, v18
	v_fma_f16 v18, v30, s1, v18
	v_add_f16_e32 v30, v56, v19
	v_add_f16_e32 v19, v19, v20
	;; [unrolled: 1-line block ×3, first 2 shown]
	v_fma_f16 v19, v19, -0.5, v56
	v_sub_f16_e32 v20, v31, v32
	v_pack_b32_f16 v1, v5, v1
	v_fma_f16 v31, v20, s1, v19
	v_fma_f16 v19, v20, s0, v19
	s_barrier
	v_pack_b32_f16 v20, v33, v34
	v_pack_b32_f16 v9, v35, v9
	ds_write_b32 v50, v1 offset:832
	v_pack_b32_f16 v1, v7, v11
	v_pack_b32_f16 v5, v37, v13
	ds_write2_b32 v50, v20, v9 offset1:104
	ds_write2_b32 v78, v1, v5 offset1:104
	v_pack_b32_f16 v1, v6, v8
	ds_write_b32 v78, v1 offset:832
	v_pack_b32_f16 v1, v10, v29
	v_pack_b32_f16 v5, v36, v17
	v_add_f16_e32 v16, v16, v32
	ds_write2_b32 v79, v1, v5 offset1:104
	v_pack_b32_f16 v1, v14, v15
	ds_write_b32 v79, v1 offset:832
	v_pack_b32_f16 v1, v16, v30
	v_pack_b32_f16 v5, v38, v31
	v_add_u32_e32 v6, 0x800, v80
	ds_write2_b32 v6, v1, v5 offset0:112 offset1:216
	v_pack_b32_f16 v1, v18, v19
	ds_write_b32 v80, v1 offset:3328
	s_waitcnt lgkmcnt(0)
	s_barrier
	ds_read2_b32 v[5:6], v50 offset1:78
	ds_read2_b32 v[7:8], v2 offset0:56 offset1:134
	ds_read2_b32 v[9:10], v3 offset0:112 offset1:190
	;; [unrolled: 1-line block ×5, first 2 shown]
	s_mov_b32 s4, 0x11811812
	s_waitcnt lgkmcnt(5)
	v_lshrrev_b32_e32 v1, 16, v5
	s_waitcnt lgkmcnt(4)
	v_lshrrev_b32_e32 v11, 16, v7
	v_mul_f16_sdwa v37, v21, v11 dst_sel:DWORD dst_unused:UNUSED_PAD src0_sel:WORD_1 src1_sel:DWORD
	s_waitcnt lgkmcnt(3)
	v_lshrrev_b32_e32 v19, 16, v9
	v_fma_f16 v37, v21, v7, v37
	v_mul_f16_sdwa v7, v21, v7 dst_sel:DWORD dst_unused:UNUSED_PAD src0_sel:WORD_1 src1_sel:DWORD
	v_lshrrev_b32_e32 v30, 16, v10
	v_fma_f16 v7, v21, v11, -v7
	v_mul_f16_sdwa v11, v22, v19 dst_sel:DWORD dst_unused:UNUSED_PAD src0_sel:WORD_1 src1_sel:DWORD
	v_lshrrev_b32_e32 v29, 16, v8
	v_fma_f16 v11, v22, v9, v11
	v_mul_f16_sdwa v9, v22, v9 dst_sel:DWORD dst_unused:UNUSED_PAD src0_sel:WORD_1 src1_sel:DWORD
	v_mul_f16_sdwa v21, v24, v30 dst_sel:DWORD dst_unused:UNUSED_PAD src0_sel:WORD_1 src1_sel:DWORD
	s_waitcnt lgkmcnt(1)
	v_lshrrev_b32_e32 v32, 16, v15
	v_lshrrev_b32_e32 v35, 16, v16
	v_fma_f16 v9, v22, v19, -v9
	v_mul_f16_sdwa v19, v23, v29 dst_sel:DWORD dst_unused:UNUSED_PAD src0_sel:WORD_1 src1_sel:DWORD
	v_fma_f16 v21, v24, v10, v21
	v_mul_f16_sdwa v10, v24, v10 dst_sel:DWORD dst_unused:UNUSED_PAD src0_sel:WORD_1 src1_sel:DWORD
	s_waitcnt lgkmcnt(0)
	v_lshrrev_b32_e32 v33, 16, v17
	v_fma_f16 v19, v23, v8, v19
	v_mul_f16_sdwa v8, v23, v8 dst_sel:DWORD dst_unused:UNUSED_PAD src0_sel:WORD_1 src1_sel:DWORD
	v_fma_f16 v10, v24, v30, -v10
	v_mul_f16_sdwa v22, v25, v32 dst_sel:DWORD dst_unused:UNUSED_PAD src0_sel:WORD_1 src1_sel:DWORD
	v_mul_f16_sdwa v24, v27, v35 dst_sel:DWORD dst_unused:UNUSED_PAD src0_sel:WORD_1 src1_sel:DWORD
	v_lshrrev_b32_e32 v36, 16, v18
	v_fma_f16 v8, v23, v29, -v8
	v_fma_f16 v22, v25, v15, v22
	v_mul_f16_sdwa v15, v25, v15 dst_sel:DWORD dst_unused:UNUSED_PAD src0_sel:WORD_1 src1_sel:DWORD
	v_mul_f16_sdwa v23, v26, v33 dst_sel:DWORD dst_unused:UNUSED_PAD src0_sel:WORD_1 src1_sel:DWORD
	v_fma_f16 v24, v27, v16, v24
	v_mul_f16_sdwa v16, v27, v16 dst_sel:DWORD dst_unused:UNUSED_PAD src0_sel:WORD_1 src1_sel:DWORD
	v_fma_f16 v15, v25, v32, -v15
	v_fma_f16 v23, v26, v17, v23
	v_mul_f16_sdwa v17, v26, v17 dst_sel:DWORD dst_unused:UNUSED_PAD src0_sel:WORD_1 src1_sel:DWORD
	v_fma_f16 v16, v27, v35, -v16
	v_mul_f16_sdwa v25, v28, v36 dst_sel:DWORD dst_unused:UNUSED_PAD src0_sel:WORD_1 src1_sel:DWORD
	v_add_f16_e32 v27, v37, v11
	v_fma_f16 v17, v26, v33, -v17
	v_fma_f16 v25, v28, v18, v25
	v_mul_f16_sdwa v18, v28, v18 dst_sel:DWORD dst_unused:UNUSED_PAD src0_sel:WORD_1 src1_sel:DWORD
	v_add_f16_e32 v26, v5, v37
	v_fma_f16 v5, v27, -0.5, v5
	v_sub_f16_e32 v27, v7, v9
	v_fma_f16 v18, v28, v36, -v18
	v_fma_f16 v28, v27, s0, v5
	v_fma_f16 v5, v27, s1, v5
	v_add_f16_e32 v27, v1, v7
	v_add_f16_e32 v7, v7, v9
	;; [unrolled: 1-line block ×3, first 2 shown]
	v_fma_f16 v1, v7, -0.5, v1
	v_sub_f16_e32 v7, v37, v11
	v_add_f16_e32 v11, v19, v21
	v_lshrrev_b32_e32 v20, 16, v6
	v_add_f16_e32 v27, v27, v9
	v_fma_f16 v9, v7, s1, v1
	v_fma_f16 v1, v7, s0, v1
	v_add_f16_e32 v7, v6, v19
	v_fma_f16 v6, v11, -0.5, v6
	v_sub_f16_e32 v11, v8, v10
	v_fma_f16 v29, v11, s0, v6
	v_fma_f16 v6, v11, s1, v6
	v_add_f16_e32 v11, v20, v8
	v_add_f16_e32 v8, v8, v10
	;; [unrolled: 1-line block ×3, first 2 shown]
	v_fma_f16 v8, v8, -0.5, v20
	v_sub_f16_e32 v10, v19, v21
	v_add_f16_e32 v20, v22, v23
	v_lshrrev_b32_e32 v31, 16, v13
	v_fma_f16 v19, v10, s1, v8
	v_fma_f16 v8, v10, s0, v8
	v_add_f16_e32 v10, v13, v22
	v_fma_f16 v13, v20, -0.5, v13
	v_sub_f16_e32 v20, v15, v17
	v_add_f16_e32 v7, v7, v21
	v_fma_f16 v21, v20, s0, v13
	v_fma_f16 v13, v20, s1, v13
	v_add_f16_e32 v20, v31, v15
	v_add_f16_e32 v15, v15, v17
	;; [unrolled: 1-line block ×4, first 2 shown]
	v_fma_f16 v15, v15, -0.5, v31
	v_sub_f16_e32 v17, v22, v23
	v_add_f16_e32 v23, v24, v25
	v_lshrrev_b32_e32 v34, 16, v14
	v_fma_f16 v22, v17, s1, v15
	v_fma_f16 v15, v17, s0, v15
	v_add_f16_e32 v17, v14, v24
	v_fma_f16 v14, v23, -0.5, v14
	v_sub_f16_e32 v23, v16, v18
	v_fma_f16 v30, v23, s0, v14
	v_fma_f16 v14, v23, s1, v14
	v_add_f16_e32 v23, v34, v16
	v_add_f16_e32 v16, v16, v18
	;; [unrolled: 1-line block ×3, first 2 shown]
	v_fma_f16 v16, v16, -0.5, v34
	v_sub_f16_e32 v18, v24, v25
	v_fma_f16 v24, v18, s1, v16
	v_fma_f16 v16, v18, s0, v16
	v_pack_b32_f16 v18, v26, v27
	v_pack_b32_f16 v9, v28, v9
	;; [unrolled: 1-line block ×3, first 2 shown]
	ds_write_b32 v50, v18
	ds_write_b32 v50, v9 offset:1248
	ds_write_b32 v81, v1 offset:2496
	v_pack_b32_f16 v1, v7, v11
	ds_write_b32 v50, v1 offset:312
	v_pack_b32_f16 v1, v29, v19
	;; [unrolled: 2-line block ×3, first 2 shown]
	v_pack_b32_f16 v5, v21, v22
	v_add_f16_e32 v17, v17, v25
	ds_write_b32 v81, v1 offset:2808
	ds_write_b32 v59, v5 offset:1248
	v_pack_b32_f16 v5, v13, v15
	v_pack_b32_f16 v1, v10, v20
	ds_write_b32 v59, v5 offset:2496
	v_pack_b32_f16 v5, v17, v23
	ds_write2_b32 v50, v1, v5 offset0:156 offset1:234
	v_pack_b32_f16 v1, v30, v24
	ds_write_b32 v58, v1 offset:1248
	v_pack_b32_f16 v1, v14, v16
	ds_write_b32 v58, v1 offset:2496
	s_waitcnt lgkmcnt(0)
	s_barrier
	ds_read2_b32 v[5:6], v50 offset1:78
	s_mov_b32 s5, 0x3f518118
	v_mad_u64_u32 v[7:8], s[0:1], s10, v12, 0
	s_movk_i32 s6, 0x1ff
	s_waitcnt lgkmcnt(0)
	v_lshrrev_b32_e32 v13, 16, v5
	v_mul_f16_sdwa v1, v54, v13 dst_sel:DWORD dst_unused:UNUSED_PAD src0_sel:WORD_1 src1_sel:DWORD
	v_fma_f16 v1, v54, v5, v1
	v_cvt_f32_f16_e32 v1, v1
	s_movk_i32 s7, 0xffe
	v_mul_f16_sdwa v5, v54, v5 dst_sel:DWORD dst_unused:UNUSED_PAD src0_sel:WORD_1 src1_sel:DWORD
	v_fma_f16 v5, v54, v13, -v5
	v_cvt_f64_f32_e32 v[9:10], v1
	v_mov_b32_e32 v1, v8
	v_mad_u64_u32 v[11:12], s[0:1], s11, v12, v[1:2]
	v_mul_f64 v[9:10], v[9:10], s[4:5]
	v_cvt_f32_f16_e32 v5, v5
	v_mov_b32_e32 v8, v11
	s_movk_i32 s10, 0x40f
	s_mov_b32 s11, 0x8000
	v_lshlrev_b64 v[7:8], 2, v[7:8]
	v_and_or_b32 v1, v10, s6, v9
	v_cmp_ne_u32_e32 vcc, 0, v1
	v_cndmask_b32_e64 v1, 0, 1, vcc
	v_lshrrev_b32_e32 v9, 8, v10
	v_bfe_u32 v11, v10, 20, 11
	v_and_or_b32 v9, v9, s7, v1
	v_sub_u32_e32 v12, 0x3f1, v11
	v_or_b32_e32 v1, 0x1000, v9
	v_med3_i32 v12, v12, 0, 13
	v_lshrrev_b32_e32 v14, v12, v1
	v_lshlrev_b32_e32 v12, v12, v14
	v_cmp_ne_u32_e32 vcc, v12, v1
	v_cndmask_b32_e64 v1, 0, 1, vcc
	v_or_b32_e32 v1, v14, v1
	v_add_u32_e32 v14, 0xfffffc10, v11
	v_lshl_or_b32 v11, v14, 12, v9
	v_cmp_gt_i32_e32 vcc, 1, v14
	v_cndmask_b32_e32 v1, v11, v1, vcc
	v_and_b32_e32 v11, 7, v1
	v_cmp_lt_i32_e32 vcc, 5, v11
	v_cmp_eq_u32_e64 s[0:1], 3, v11
	v_cvt_f64_f32_e32 v[11:12], v5
	v_lshrrev_b32_e32 v1, 2, v1
	s_or_b64 vcc, s[0:1], vcc
	v_addc_co_u32_e32 v13, vcc, 0, v1, vcc
	v_mul_f64 v[11:12], v[11:12], s[4:5]
	v_mov_b32_e32 v1, 0x7c00
	v_cmp_gt_i32_e32 vcc, 31, v14
	v_cndmask_b32_e32 v5, v1, v13, vcc
	v_cmp_ne_u32_e32 vcc, 0, v9
	v_cndmask_b32_e64 v9, 0, 1, vcc
	v_lshl_or_b32 v9, v9, 9, v1
	v_cmp_eq_u32_e32 vcc, s10, v14
	v_cndmask_b32_e32 v5, v5, v9, vcc
	v_lshrrev_b32_e32 v9, 16, v10
	v_and_or_b32 v13, v9, s11, v5
	v_and_or_b32 v5, v12, s6, v11
	v_cmp_ne_u32_e32 vcc, 0, v5
	v_cndmask_b32_e64 v5, 0, 1, vcc
	v_lshrrev_b32_e32 v9, 8, v12
	v_bfe_u32 v10, v12, 20, 11
	v_and_or_b32 v5, v9, s7, v5
	v_sub_u32_e32 v11, 0x3f1, v10
	v_or_b32_e32 v9, 0x1000, v5
	v_med3_i32 v11, v11, 0, 13
	v_lshrrev_b32_e32 v14, v11, v9
	v_lshlrev_b32_e32 v11, v11, v14
	v_cmp_ne_u32_e32 vcc, v11, v9
	v_cndmask_b32_e64 v9, 0, 1, vcc
	v_add_u32_e32 v11, 0xfffffc10, v10
	v_or_b32_e32 v9, v14, v9
	v_lshl_or_b32 v10, v11, 12, v5
	v_cmp_gt_i32_e32 vcc, 1, v11
	v_cndmask_b32_e32 v9, v10, v9, vcc
	v_and_b32_e32 v10, 7, v9
	v_cmp_lt_i32_e32 vcc, 5, v10
	v_cmp_eq_u32_e64 s[0:1], 3, v10
	v_lshrrev_b32_e32 v9, 2, v9
	s_or_b64 vcc, s[0:1], vcc
	v_addc_co_u32_e32 v9, vcc, 0, v9, vcc
	v_cmp_gt_i32_e32 vcc, 31, v11
	v_cndmask_b32_e32 v14, v1, v9, vcc
	v_cmp_ne_u32_e32 vcc, 0, v5
	v_cndmask_b32_e64 v5, 0, 1, vcc
	v_lshl_or_b32 v5, v5, 9, v1
	v_cmp_eq_u32_e32 vcc, s10, v11
	v_cndmask_b32_e32 v14, v14, v5, vcc
	ds_read2_b32 v[4:5], v4 offset0:84 offset1:162
	v_mad_u64_u32 v[9:10], s[0:1], s8, v53, 0
	v_lshrrev_b32_e32 v12, 16, v12
	v_and_or_b32 v14, v12, s11, v14
	v_mad_u64_u32 v[10:11], s[0:1], s9, v53, v[10:11]
	s_waitcnt lgkmcnt(0)
	v_lshrrev_b32_e32 v15, 16, v4
	v_mul_f16_sdwa v11, v52, v15 dst_sel:DWORD dst_unused:UNUSED_PAD src0_sel:WORD_1 src1_sel:DWORD
	v_fma_f16 v11, v52, v4, v11
	v_cvt_f32_f16_e32 v11, v11
	v_and_b32_e32 v13, 0xffff, v13
	v_lshl_or_b32 v13, v14, 16, v13
	v_mov_b32_e32 v14, s3
	v_cvt_f64_f32_e32 v[11:12], v11
	v_add_co_u32_e32 v16, vcc, s2, v7
	v_addc_co_u32_e32 v14, vcc, v14, v8, vcc
	v_mul_f64 v[11:12], v[11:12], s[4:5]
	v_lshlrev_b64 v[7:8], 2, v[9:10]
	v_mul_f16_sdwa v4, v52, v4 dst_sel:DWORD dst_unused:UNUSED_PAD src0_sel:WORD_1 src1_sel:DWORD
	v_add_co_u32_e32 v7, vcc, v16, v7
	v_addc_co_u32_e32 v8, vcc, v14, v8, vcc
	global_store_dword v[7:8], v13, off
	v_and_or_b32 v9, v12, s6, v11
	v_cmp_ne_u32_e32 vcc, 0, v9
	v_cndmask_b32_e64 v9, 0, 1, vcc
	v_lshrrev_b32_e32 v10, 8, v12
	v_and_or_b32 v11, v10, s7, v9
	v_bfe_u32 v10, v12, 20, 11
	v_sub_u32_e32 v13, 0x3f1, v10
	v_or_b32_e32 v9, 0x1000, v11
	v_med3_i32 v13, v13, 0, 13
	v_lshrrev_b32_e32 v14, v13, v9
	v_lshlrev_b32_e32 v13, v13, v14
	v_cmp_ne_u32_e32 vcc, v13, v9
	v_fma_f16 v4, v52, v15, -v4
	v_cndmask_b32_e64 v9, 0, 1, vcc
	v_add_u32_e32 v13, 0xfffffc10, v10
	v_cvt_f32_f16_e32 v4, v4
	v_or_b32_e32 v9, v14, v9
	v_lshl_or_b32 v10, v13, 12, v11
	v_cmp_gt_i32_e32 vcc, 1, v13
	v_cndmask_b32_e32 v9, v10, v9, vcc
	v_and_b32_e32 v10, 7, v9
	v_cmp_lt_i32_e32 vcc, 5, v10
	v_cmp_eq_u32_e64 s[0:1], 3, v10
	v_lshrrev_b32_e32 v14, 2, v9
	v_cvt_f64_f32_e32 v[9:10], v4
	s_or_b64 vcc, s[0:1], vcc
	v_addc_co_u32_e32 v4, vcc, 0, v14, vcc
	v_mul_f64 v[9:10], v[9:10], s[4:5]
	v_cmp_gt_i32_e32 vcc, 31, v13
	v_cndmask_b32_e32 v4, v1, v4, vcc
	v_cmp_ne_u32_e32 vcc, 0, v11
	v_cndmask_b32_e64 v11, 0, 1, vcc
	v_lshl_or_b32 v11, v11, 9, v1
	v_cmp_eq_u32_e32 vcc, s10, v13
	v_cndmask_b32_e32 v4, v4, v11, vcc
	v_and_or_b32 v9, v10, s6, v9
	v_lshrrev_b32_e32 v11, 16, v12
	v_cmp_ne_u32_e32 vcc, 0, v9
	v_and_or_b32 v4, v11, s11, v4
	v_cndmask_b32_e64 v9, 0, 1, vcc
	v_lshrrev_b32_e32 v11, 8, v10
	v_bfe_u32 v12, v10, 20, 11
	v_and_or_b32 v9, v11, s7, v9
	v_sub_u32_e32 v13, 0x3f1, v12
	v_or_b32_e32 v11, 0x1000, v9
	v_med3_i32 v13, v13, 0, 13
	v_lshrrev_b32_e32 v14, v13, v11
	v_lshlrev_b32_e32 v13, v13, v14
	v_cmp_ne_u32_e32 vcc, v13, v11
	v_cndmask_b32_e64 v11, 0, 1, vcc
	v_add_u32_e32 v12, 0xfffffc10, v12
	v_or_b32_e32 v11, v14, v11
	v_lshl_or_b32 v13, v12, 12, v9
	v_cmp_gt_i32_e32 vcc, 1, v12
	v_cndmask_b32_e32 v11, v13, v11, vcc
	v_and_b32_e32 v13, 7, v11
	v_cmp_lt_i32_e32 vcc, 5, v13
	v_cmp_eq_u32_e64 s[0:1], 3, v13
	v_lshrrev_b32_e32 v11, 2, v11
	s_or_b64 vcc, s[0:1], vcc
	v_addc_co_u32_e32 v11, vcc, 0, v11, vcc
	v_cmp_gt_i32_e32 vcc, 31, v12
	v_cndmask_b32_e32 v11, v1, v11, vcc
	v_cmp_ne_u32_e32 vcc, 0, v9
	v_cndmask_b32_e64 v9, 0, 1, vcc
	v_lshl_or_b32 v9, v9, 9, v1
	v_cmp_eq_u32_e32 vcc, s10, v12
	v_cndmask_b32_e32 v9, v11, v9, vcc
	v_lshrrev_b32_e32 v11, 16, v6
	v_mul_f16_sdwa v12, v51, v11 dst_sel:DWORD dst_unused:UNUSED_PAD src0_sel:WORD_1 src1_sel:DWORD
	v_fma_f16 v12, v51, v6, v12
	v_cvt_f32_f16_e32 v12, v12
	v_lshrrev_b32_e32 v10, 16, v10
	v_and_or_b32 v9, v10, s11, v9
	v_and_b32_e32 v4, 0xffff, v4
	v_lshl_or_b32 v4, v9, 16, v4
	v_cvt_f64_f32_e32 v[9:10], v12
	s_mul_i32 s0, s9, 0x750
	s_mul_hi_u32 s2, s8, 0x750
	s_add_i32 s2, s2, s0
	v_mul_f64 v[9:10], v[9:10], s[4:5]
	s_mul_i32 s3, s8, 0x750
	v_mov_b32_e32 v12, s2
	v_add_co_u32_e32 v7, vcc, s3, v7
	v_addc_co_u32_e32 v8, vcc, v8, v12, vcc
	global_store_dword v[7:8], v4, off
	v_and_or_b32 v4, v10, s6, v9
	v_cmp_ne_u32_e32 vcc, 0, v4
	v_cndmask_b32_e64 v4, 0, 1, vcc
	v_lshrrev_b32_e32 v9, 8, v10
	v_bfe_u32 v12, v10, 20, 11
	v_and_or_b32 v4, v9, s7, v4
	v_sub_u32_e32 v13, 0x3f1, v12
	v_or_b32_e32 v9, 0x1000, v4
	v_med3_i32 v13, v13, 0, 13
	v_lshrrev_b32_e32 v14, v13, v9
	v_lshlrev_b32_e32 v13, v13, v14
	v_mul_f16_sdwa v6, v51, v6 dst_sel:DWORD dst_unused:UNUSED_PAD src0_sel:WORD_1 src1_sel:DWORD
	v_cmp_ne_u32_e32 vcc, v13, v9
	v_fma_f16 v6, v51, v11, -v6
	v_cndmask_b32_e64 v9, 0, 1, vcc
	v_add_u32_e32 v13, 0xfffffc10, v12
	v_cvt_f32_f16_e32 v6, v6
	v_or_b32_e32 v9, v14, v9
	v_lshl_or_b32 v12, v13, 12, v4
	v_cmp_gt_i32_e32 vcc, 1, v13
	v_cndmask_b32_e32 v9, v12, v9, vcc
	v_and_b32_e32 v12, 7, v9
	v_cmp_lt_i32_e32 vcc, 5, v12
	v_cmp_eq_u32_e64 s[0:1], 3, v12
	v_cvt_f64_f32_e32 v[11:12], v6
	v_lshrrev_b32_e32 v9, 2, v9
	s_or_b64 vcc, s[0:1], vcc
	v_addc_co_u32_e32 v6, vcc, 0, v9, vcc
	v_mul_f64 v[11:12], v[11:12], s[4:5]
	v_cmp_gt_i32_e32 vcc, 31, v13
	v_cndmask_b32_e32 v6, v1, v6, vcc
	v_cmp_ne_u32_e32 vcc, 0, v4
	v_cndmask_b32_e64 v4, 0, 1, vcc
	v_lshl_or_b32 v4, v4, 9, v1
	v_cmp_eq_u32_e32 vcc, s10, v13
	v_cndmask_b32_e32 v4, v6, v4, vcc
	v_lshrrev_b32_e32 v6, 16, v10
	v_and_or_b32 v4, v6, s11, v4
	v_and_or_b32 v6, v12, s6, v11
	v_cmp_ne_u32_e32 vcc, 0, v6
	v_cndmask_b32_e64 v6, 0, 1, vcc
	v_lshrrev_b32_e32 v9, 8, v12
	v_bfe_u32 v10, v12, 20, 11
	v_and_or_b32 v6, v9, s7, v6
	v_sub_u32_e32 v11, 0x3f1, v10
	v_or_b32_e32 v9, 0x1000, v6
	v_med3_i32 v11, v11, 0, 13
	v_lshrrev_b32_e32 v13, v11, v9
	v_lshlrev_b32_e32 v11, v11, v13
	v_cmp_ne_u32_e32 vcc, v11, v9
	v_cndmask_b32_e64 v9, 0, 1, vcc
	v_add_u32_e32 v10, 0xfffffc10, v10
	v_or_b32_e32 v9, v13, v9
	v_lshl_or_b32 v11, v10, 12, v6
	v_cmp_gt_i32_e32 vcc, 1, v10
	v_cndmask_b32_e32 v9, v11, v9, vcc
	v_and_b32_e32 v11, 7, v9
	v_cmp_lt_i32_e32 vcc, 5, v11
	v_cmp_eq_u32_e64 s[0:1], 3, v11
	v_lshrrev_b32_e32 v9, 2, v9
	s_or_b64 vcc, s[0:1], vcc
	v_addc_co_u32_e32 v9, vcc, 0, v9, vcc
	v_cmp_gt_i32_e32 vcc, 31, v10
	v_cndmask_b32_e32 v9, v1, v9, vcc
	v_cmp_ne_u32_e32 vcc, 0, v6
	v_cndmask_b32_e64 v6, 0, 1, vcc
	v_lshl_or_b32 v6, v6, 9, v1
	v_cmp_eq_u32_e32 vcc, s10, v10
	v_cndmask_b32_e32 v6, v9, v6, vcc
	v_lshrrev_b32_e32 v9, 16, v12
	v_lshrrev_b32_e32 v11, 16, v5
	v_and_or_b32 v6, v9, s11, v6
	v_mul_f16_sdwa v9, v49, v11 dst_sel:DWORD dst_unused:UNUSED_PAD src0_sel:WORD_1 src1_sel:DWORD
	v_fma_f16 v9, v49, v5, v9
	v_cvt_f32_f16_e32 v9, v9
	s_mul_hi_u32 s1, s8, 0xfffff9e8
	s_mul_i32 s0, s9, 0xfffff9e8
	s_sub_i32 s9, s1, s8
	v_cvt_f64_f32_e32 v[9:10], v9
	v_and_b32_e32 v4, 0xffff, v4
	s_add_i32 s9, s9, s0
	s_mulk_i32 s8, 0xf9e8
	v_mul_f64 v[9:10], v[9:10], s[4:5]
	v_lshl_or_b32 v4, v6, 16, v4
	v_mov_b32_e32 v12, s9
	v_add_co_u32_e32 v6, vcc, s8, v7
	v_addc_co_u32_e32 v7, vcc, v8, v12, vcc
	global_store_dword v[6:7], v4, off
	v_and_or_b32 v4, v10, s6, v9
	v_cmp_ne_u32_e32 vcc, 0, v4
	v_cndmask_b32_e64 v4, 0, 1, vcc
	v_lshrrev_b32_e32 v8, 8, v10
	v_bfe_u32 v9, v10, 20, 11
	v_and_or_b32 v8, v8, s7, v4
	v_sub_u32_e32 v12, 0x3f1, v9
	v_or_b32_e32 v4, 0x1000, v8
	v_med3_i32 v12, v12, 0, 13
	v_lshrrev_b32_e32 v13, v12, v4
	v_mul_f16_sdwa v5, v49, v5 dst_sel:DWORD dst_unused:UNUSED_PAD src0_sel:WORD_1 src1_sel:DWORD
	v_lshlrev_b32_e32 v12, v12, v13
	v_fma_f16 v5, v49, v11, -v5
	v_cmp_ne_u32_e32 vcc, v12, v4
	v_cvt_f32_f16_e32 v5, v5
	v_cndmask_b32_e64 v4, 0, 1, vcc
	v_add_u32_e32 v9, 0xfffffc10, v9
	v_or_b32_e32 v4, v13, v4
	v_lshl_or_b32 v12, v9, 12, v8
	v_cmp_gt_i32_e32 vcc, 1, v9
	v_cndmask_b32_e32 v4, v12, v4, vcc
	v_and_b32_e32 v12, 7, v4
	v_lshrrev_b32_e32 v11, 2, v4
	v_cvt_f64_f32_e32 v[4:5], v5
	v_cmp_lt_i32_e32 vcc, 5, v12
	v_cmp_eq_u32_e64 s[0:1], 3, v12
	s_or_b64 vcc, s[0:1], vcc
	v_mul_f64 v[4:5], v[4:5], s[4:5]
	v_addc_co_u32_e32 v11, vcc, 0, v11, vcc
	v_cmp_gt_i32_e32 vcc, 31, v9
	v_cndmask_b32_e32 v11, v1, v11, vcc
	v_cmp_ne_u32_e32 vcc, 0, v8
	v_cndmask_b32_e64 v8, 0, 1, vcc
	v_lshl_or_b32 v8, v8, 9, v1
	v_cmp_eq_u32_e32 vcc, s10, v9
	v_and_or_b32 v4, v5, s6, v4
	v_cndmask_b32_e32 v8, v11, v8, vcc
	v_lshrrev_b32_e32 v9, 16, v10
	v_cmp_ne_u32_e32 vcc, 0, v4
	v_and_or_b32 v12, v9, s11, v8
	v_cndmask_b32_e64 v4, 0, 1, vcc
	v_lshrrev_b32_e32 v8, 8, v5
	v_bfe_u32 v9, v5, 20, 11
	v_and_or_b32 v4, v8, s7, v4
	v_sub_u32_e32 v10, 0x3f1, v9
	v_or_b32_e32 v8, 0x1000, v4
	v_med3_i32 v10, v10, 0, 13
	v_lshrrev_b32_e32 v11, v10, v8
	v_lshlrev_b32_e32 v10, v10, v11
	v_cmp_ne_u32_e32 vcc, v10, v8
	v_cndmask_b32_e64 v8, 0, 1, vcc
	v_add_u32_e32 v10, 0xfffffc10, v9
	v_or_b32_e32 v8, v11, v8
	v_lshl_or_b32 v9, v10, 12, v4
	v_cmp_gt_i32_e32 vcc, 1, v10
	v_cndmask_b32_e32 v8, v9, v8, vcc
	v_and_b32_e32 v9, 7, v8
	v_cmp_lt_i32_e32 vcc, 5, v9
	v_cmp_eq_u32_e64 s[0:1], 3, v9
	v_lshrrev_b32_e32 v8, 2, v8
	s_or_b64 vcc, s[0:1], vcc
	v_addc_co_u32_e32 v11, vcc, 0, v8, vcc
	ds_read2_b32 v[8:9], v50 offset0:156 offset1:234
	v_cmp_gt_i32_e32 vcc, 31, v10
	v_cndmask_b32_e32 v11, v1, v11, vcc
	v_cmp_ne_u32_e32 vcc, 0, v4
	v_cndmask_b32_e64 v4, 0, 1, vcc
	s_waitcnt lgkmcnt(0)
	v_lshrrev_b32_e32 v13, 16, v8
	v_mul_f16_sdwa v14, v48, v13 dst_sel:DWORD dst_unused:UNUSED_PAD src0_sel:WORD_1 src1_sel:DWORD
	v_fma_f16 v14, v48, v8, v14
	v_cvt_f32_f16_e32 v14, v14
	v_lshl_or_b32 v4, v4, 9, v1
	v_cmp_eq_u32_e32 vcc, s10, v10
	v_cndmask_b32_e32 v4, v11, v4, vcc
	v_cvt_f64_f32_e32 v[10:11], v14
	v_lshrrev_b32_e32 v5, 16, v5
	v_and_or_b32 v14, v5, s11, v4
	v_add_co_u32_e32 v6, vcc, s3, v6
	v_mul_f64 v[4:5], v[10:11], s[4:5]
	v_mov_b32_e32 v11, s2
	v_and_b32_e32 v12, 0xffff, v12
	v_addc_co_u32_e32 v7, vcc, v7, v11, vcc
	v_lshl_or_b32 v10, v14, 16, v12
	global_store_dword v[6:7], v10, off
	v_mul_f16_sdwa v8, v48, v8 dst_sel:DWORD dst_unused:UNUSED_PAD src0_sel:WORD_1 src1_sel:DWORD
	v_and_or_b32 v4, v5, s6, v4
	v_cmp_ne_u32_e32 vcc, 0, v4
	v_cndmask_b32_e64 v4, 0, 1, vcc
	v_lshrrev_b32_e32 v10, 8, v5
	v_bfe_u32 v11, v5, 20, 11
	v_and_or_b32 v4, v10, s7, v4
	v_sub_u32_e32 v12, 0x3f1, v11
	v_or_b32_e32 v10, 0x1000, v4
	v_med3_i32 v12, v12, 0, 13
	v_lshrrev_b32_e32 v14, v12, v10
	v_lshlrev_b32_e32 v12, v12, v14
	v_cmp_ne_u32_e32 vcc, v12, v10
	v_fma_f16 v8, v48, v13, -v8
	v_cndmask_b32_e64 v10, 0, 1, vcc
	v_add_u32_e32 v12, 0xfffffc10, v11
	v_cvt_f32_f16_e32 v8, v8
	v_or_b32_e32 v10, v14, v10
	v_lshl_or_b32 v11, v12, 12, v4
	v_cmp_gt_i32_e32 vcc, 1, v12
	v_cndmask_b32_e32 v10, v11, v10, vcc
	v_and_b32_e32 v11, 7, v10
	v_cmp_lt_i32_e32 vcc, 5, v11
	v_cmp_eq_u32_e64 s[0:1], 3, v11
	v_lshrrev_b32_e32 v13, 2, v10
	v_cvt_f64_f32_e32 v[10:11], v8
	s_or_b64 vcc, s[0:1], vcc
	v_addc_co_u32_e32 v8, vcc, 0, v13, vcc
	v_mul_f64 v[10:11], v[10:11], s[4:5]
	v_cmp_gt_i32_e32 vcc, 31, v12
	v_cndmask_b32_e32 v8, v1, v8, vcc
	v_cmp_ne_u32_e32 vcc, 0, v4
	v_cndmask_b32_e64 v4, 0, 1, vcc
	v_lshl_or_b32 v4, v4, 9, v1
	v_cmp_eq_u32_e32 vcc, s10, v12
	v_cndmask_b32_e32 v4, v8, v4, vcc
	v_lshrrev_b32_e32 v5, 16, v5
	v_and_or_b32 v5, v5, s11, v4
	v_and_or_b32 v4, v11, s6, v10
	v_cmp_ne_u32_e32 vcc, 0, v4
	v_cndmask_b32_e64 v4, 0, 1, vcc
	v_lshrrev_b32_e32 v8, 8, v11
	v_bfe_u32 v10, v11, 20, 11
	v_and_or_b32 v8, v8, s7, v4
	v_sub_u32_e32 v12, 0x3f1, v10
	v_or_b32_e32 v4, 0x1000, v8
	v_med3_i32 v12, v12, 0, 13
	v_lshrrev_b32_e32 v13, v12, v4
	v_lshlrev_b32_e32 v12, v12, v13
	v_cmp_ne_u32_e32 vcc, v12, v4
	v_cndmask_b32_e64 v4, 0, 1, vcc
	v_add_u32_e32 v10, 0xfffffc10, v10
	v_or_b32_e32 v4, v13, v4
	v_lshl_or_b32 v12, v10, 12, v8
	v_cmp_gt_i32_e32 vcc, 1, v10
	v_cndmask_b32_e32 v4, v12, v4, vcc
	v_and_b32_e32 v12, 7, v4
	v_cmp_lt_i32_e32 vcc, 5, v12
	v_cmp_eq_u32_e64 s[0:1], 3, v12
	v_lshrrev_b32_e32 v4, 2, v4
	s_or_b64 vcc, s[0:1], vcc
	v_addc_co_u32_e32 v12, vcc, 0, v4, vcc
	ds_read2_b32 v[3:4], v3 offset0:112 offset1:190
	v_cmp_gt_i32_e32 vcc, 31, v10
	v_cndmask_b32_e32 v12, v1, v12, vcc
	v_cmp_ne_u32_e32 vcc, 0, v8
	v_cndmask_b32_e64 v8, 0, 1, vcc
	s_waitcnt lgkmcnt(0)
	v_lshrrev_b32_e32 v14, 16, v3
	v_mul_f16_sdwa v13, v47, v14 dst_sel:DWORD dst_unused:UNUSED_PAD src0_sel:WORD_1 src1_sel:DWORD
	v_fma_f16 v13, v47, v3, v13
	v_cvt_f32_f16_e32 v13, v13
	v_lshl_or_b32 v8, v8, 9, v1
	v_cmp_eq_u32_e32 vcc, s10, v10
	v_cndmask_b32_e32 v8, v12, v8, vcc
	v_cvt_f64_f32_e32 v[12:13], v13
	v_lshrrev_b32_e32 v10, 16, v11
	v_and_or_b32 v8, v10, s11, v8
	v_and_b32_e32 v5, 0xffff, v5
	v_mul_f64 v[10:11], v[12:13], s[4:5]
	v_lshl_or_b32 v8, v8, 16, v5
	v_mov_b32_e32 v12, s9
	v_add_co_u32_e32 v5, vcc, s8, v6
	v_addc_co_u32_e32 v6, vcc, v7, v12, vcc
	global_store_dword v[5:6], v8, off
	v_and_or_b32 v7, v11, s6, v10
	v_cmp_ne_u32_e32 vcc, 0, v7
	v_cndmask_b32_e64 v7, 0, 1, vcc
	v_lshrrev_b32_e32 v8, 8, v11
	v_and_or_b32 v10, v8, s7, v7
	v_bfe_u32 v8, v11, 20, 11
	v_sub_u32_e32 v12, 0x3f1, v8
	v_or_b32_e32 v7, 0x1000, v10
	v_med3_i32 v12, v12, 0, 13
	v_lshrrev_b32_e32 v13, v12, v7
	v_lshlrev_b32_e32 v12, v12, v13
	v_mul_f16_sdwa v3, v47, v3 dst_sel:DWORD dst_unused:UNUSED_PAD src0_sel:WORD_1 src1_sel:DWORD
	v_cmp_ne_u32_e32 vcc, v12, v7
	v_fma_f16 v3, v47, v14, -v3
	v_cndmask_b32_e64 v7, 0, 1, vcc
	v_add_u32_e32 v12, 0xfffffc10, v8
	v_cvt_f32_f16_e32 v3, v3
	v_or_b32_e32 v7, v13, v7
	v_lshl_or_b32 v8, v12, 12, v10
	v_cmp_gt_i32_e32 vcc, 1, v12
	v_cndmask_b32_e32 v7, v8, v7, vcc
	v_and_b32_e32 v8, 7, v7
	v_cmp_lt_i32_e32 vcc, 5, v8
	v_cmp_eq_u32_e64 s[0:1], 3, v8
	v_lshrrev_b32_e32 v13, 2, v7
	v_cvt_f64_f32_e32 v[7:8], v3
	s_or_b64 vcc, s[0:1], vcc
	v_addc_co_u32_e32 v3, vcc, 0, v13, vcc
	v_mul_f64 v[7:8], v[7:8], s[4:5]
	v_cmp_gt_i32_e32 vcc, 31, v12
	v_cndmask_b32_e32 v3, v1, v3, vcc
	v_cmp_ne_u32_e32 vcc, 0, v10
	v_cndmask_b32_e64 v10, 0, 1, vcc
	v_lshl_or_b32 v10, v10, 9, v1
	v_cmp_eq_u32_e32 vcc, s10, v12
	v_cndmask_b32_e32 v3, v3, v10, vcc
	v_and_or_b32 v7, v8, s6, v7
	v_lshrrev_b32_e32 v10, 16, v11
	v_cmp_ne_u32_e32 vcc, 0, v7
	v_and_or_b32 v3, v10, s11, v3
	v_cndmask_b32_e64 v7, 0, 1, vcc
	v_lshrrev_b32_e32 v10, 8, v8
	v_bfe_u32 v11, v8, 20, 11
	v_and_or_b32 v7, v10, s7, v7
	v_sub_u32_e32 v12, 0x3f1, v11
	v_or_b32_e32 v10, 0x1000, v7
	v_med3_i32 v12, v12, 0, 13
	v_lshrrev_b32_e32 v13, v12, v10
	v_lshlrev_b32_e32 v12, v12, v13
	v_cmp_ne_u32_e32 vcc, v12, v10
	v_cndmask_b32_e64 v10, 0, 1, vcc
	v_add_u32_e32 v11, 0xfffffc10, v11
	v_or_b32_e32 v10, v13, v10
	v_lshl_or_b32 v12, v11, 12, v7
	v_cmp_gt_i32_e32 vcc, 1, v11
	v_cndmask_b32_e32 v10, v12, v10, vcc
	v_and_b32_e32 v12, 7, v10
	v_cmp_lt_i32_e32 vcc, 5, v12
	v_cmp_eq_u32_e64 s[0:1], 3, v12
	v_lshrrev_b32_e32 v12, 16, v9
	v_lshrrev_b32_e32 v10, 2, v10
	s_or_b64 vcc, s[0:1], vcc
	v_mul_f16_sdwa v13, v46, v12 dst_sel:DWORD dst_unused:UNUSED_PAD src0_sel:WORD_1 src1_sel:DWORD
	v_addc_co_u32_e32 v10, vcc, 0, v10, vcc
	v_fma_f16 v13, v46, v9, v13
	v_cmp_gt_i32_e32 vcc, 31, v11
	v_cvt_f32_f16_e32 v13, v13
	v_cndmask_b32_e32 v10, v1, v10, vcc
	v_cmp_ne_u32_e32 vcc, 0, v7
	v_cndmask_b32_e64 v7, 0, 1, vcc
	v_lshl_or_b32 v7, v7, 9, v1
	v_cmp_eq_u32_e32 vcc, s10, v11
	v_cndmask_b32_e32 v7, v10, v7, vcc
	v_cvt_f64_f32_e32 v[10:11], v13
	v_lshrrev_b32_e32 v8, 16, v8
	v_and_or_b32 v13, v8, s11, v7
	v_and_b32_e32 v3, 0xffff, v3
	v_mul_f64 v[7:8], v[10:11], s[4:5]
	v_mov_b32_e32 v10, s2
	v_add_co_u32_e32 v5, vcc, s3, v5
	v_lshl_or_b32 v3, v13, 16, v3
	v_addc_co_u32_e32 v6, vcc, v6, v10, vcc
	global_store_dword v[5:6], v3, off
	v_and_or_b32 v3, v8, s6, v7
	v_cmp_ne_u32_e32 vcc, 0, v3
	v_cndmask_b32_e64 v3, 0, 1, vcc
	v_lshrrev_b32_e32 v7, 8, v8
	v_bfe_u32 v10, v8, 20, 11
	v_and_or_b32 v3, v7, s7, v3
	v_sub_u32_e32 v11, 0x3f1, v10
	v_or_b32_e32 v7, 0x1000, v3
	v_med3_i32 v11, v11, 0, 13
	v_lshrrev_b32_e32 v13, v11, v7
	v_lshlrev_b32_e32 v11, v11, v13
	v_mul_f16_sdwa v9, v46, v9 dst_sel:DWORD dst_unused:UNUSED_PAD src0_sel:WORD_1 src1_sel:DWORD
	v_cmp_ne_u32_e32 vcc, v11, v7
	v_fma_f16 v9, v46, v12, -v9
	v_cndmask_b32_e64 v7, 0, 1, vcc
	v_add_u32_e32 v11, 0xfffffc10, v10
	v_cvt_f32_f16_e32 v9, v9
	v_or_b32_e32 v7, v13, v7
	v_lshl_or_b32 v10, v11, 12, v3
	v_cmp_gt_i32_e32 vcc, 1, v11
	v_cndmask_b32_e32 v7, v10, v7, vcc
	v_and_b32_e32 v10, 7, v7
	v_cmp_lt_i32_e32 vcc, 5, v10
	v_cmp_eq_u32_e64 s[0:1], 3, v10
	v_cvt_f64_f32_e32 v[9:10], v9
	v_lshrrev_b32_e32 v7, 2, v7
	s_or_b64 vcc, s[0:1], vcc
	v_addc_co_u32_e32 v7, vcc, 0, v7, vcc
	v_mul_f64 v[9:10], v[9:10], s[4:5]
	v_cmp_gt_i32_e32 vcc, 31, v11
	v_cndmask_b32_e32 v7, v1, v7, vcc
	v_cmp_ne_u32_e32 vcc, 0, v3
	v_cndmask_b32_e64 v3, 0, 1, vcc
	v_lshl_or_b32 v3, v3, 9, v1
	v_cmp_eq_u32_e32 vcc, s10, v11
	v_cndmask_b32_e32 v3, v7, v3, vcc
	v_lshrrev_b32_e32 v7, 16, v8
	v_and_or_b32 v3, v7, s11, v3
	v_and_or_b32 v7, v10, s6, v9
	v_cmp_ne_u32_e32 vcc, 0, v7
	v_cndmask_b32_e64 v7, 0, 1, vcc
	v_lshrrev_b32_e32 v8, 8, v10
	v_bfe_u32 v9, v10, 20, 11
	v_and_or_b32 v7, v8, s7, v7
	v_sub_u32_e32 v11, 0x3f1, v9
	v_or_b32_e32 v8, 0x1000, v7
	v_med3_i32 v11, v11, 0, 13
	v_lshrrev_b32_e32 v12, v11, v8
	v_lshlrev_b32_e32 v11, v11, v12
	v_cmp_ne_u32_e32 vcc, v11, v8
	v_cndmask_b32_e64 v8, 0, 1, vcc
	v_add_u32_e32 v9, 0xfffffc10, v9
	v_or_b32_e32 v8, v12, v8
	v_lshl_or_b32 v11, v9, 12, v7
	v_cmp_gt_i32_e32 vcc, 1, v9
	v_cndmask_b32_e32 v8, v11, v8, vcc
	v_and_b32_e32 v11, 7, v8
	v_cmp_lt_i32_e32 vcc, 5, v11
	v_cmp_eq_u32_e64 s[0:1], 3, v11
	v_lshrrev_b32_e32 v11, 16, v4
	v_lshrrev_b32_e32 v8, 2, v8
	s_or_b64 vcc, s[0:1], vcc
	v_mul_f16_sdwa v12, v45, v11 dst_sel:DWORD dst_unused:UNUSED_PAD src0_sel:WORD_1 src1_sel:DWORD
	v_addc_co_u32_e32 v8, vcc, 0, v8, vcc
	v_fma_f16 v12, v45, v4, v12
	v_cmp_gt_i32_e32 vcc, 31, v9
	v_cvt_f32_f16_e32 v12, v12
	v_cndmask_b32_e32 v8, v1, v8, vcc
	v_cmp_ne_u32_e32 vcc, 0, v7
	v_cndmask_b32_e64 v7, 0, 1, vcc
	v_lshl_or_b32 v7, v7, 9, v1
	v_cmp_eq_u32_e32 vcc, s10, v9
	v_cndmask_b32_e32 v9, v8, v7, vcc
	v_cvt_f64_f32_e32 v[7:8], v12
	v_lshrrev_b32_e32 v10, 16, v10
	v_and_or_b32 v9, v10, s11, v9
	v_and_b32_e32 v3, 0xffff, v3
	v_mul_f64 v[7:8], v[7:8], s[4:5]
	v_lshl_or_b32 v3, v9, 16, v3
	v_mov_b32_e32 v9, s9
	v_add_co_u32_e32 v5, vcc, s8, v5
	v_addc_co_u32_e32 v6, vcc, v6, v9, vcc
	global_store_dword v[5:6], v3, off
	v_and_or_b32 v3, v8, s6, v7
	v_cmp_ne_u32_e32 vcc, 0, v3
	v_cndmask_b32_e64 v3, 0, 1, vcc
	v_lshrrev_b32_e32 v7, 8, v8
	v_bfe_u32 v9, v8, 20, 11
	v_and_or_b32 v7, v7, s7, v3
	v_sub_u32_e32 v10, 0x3f1, v9
	v_or_b32_e32 v3, 0x1000, v7
	v_med3_i32 v10, v10, 0, 13
	v_lshrrev_b32_e32 v12, v10, v3
	v_lshlrev_b32_e32 v10, v10, v12
	v_mul_f16_sdwa v4, v45, v4 dst_sel:DWORD dst_unused:UNUSED_PAD src0_sel:WORD_1 src1_sel:DWORD
	v_cmp_ne_u32_e32 vcc, v10, v3
	v_fma_f16 v4, v45, v11, -v4
	v_cndmask_b32_e64 v3, 0, 1, vcc
	v_add_u32_e32 v9, 0xfffffc10, v9
	v_cvt_f32_f16_e32 v4, v4
	v_or_b32_e32 v3, v12, v3
	v_lshl_or_b32 v10, v9, 12, v7
	v_cmp_gt_i32_e32 vcc, 1, v9
	v_cndmask_b32_e32 v3, v10, v3, vcc
	v_and_b32_e32 v10, 7, v3
	v_cmp_lt_i32_e32 vcc, 5, v10
	v_cmp_eq_u32_e64 s[0:1], 3, v10
	v_lshrrev_b32_e32 v10, 2, v3
	v_cvt_f64_f32_e32 v[3:4], v4
	s_or_b64 vcc, s[0:1], vcc
	v_addc_co_u32_e32 v10, vcc, 0, v10, vcc
	v_mul_f64 v[3:4], v[3:4], s[4:5]
	v_cmp_gt_i32_e32 vcc, 31, v9
	v_cndmask_b32_e32 v10, v1, v10, vcc
	v_cmp_ne_u32_e32 vcc, 0, v7
	v_cndmask_b32_e64 v7, 0, 1, vcc
	v_lshl_or_b32 v7, v7, 9, v1
	v_cmp_eq_u32_e32 vcc, s10, v9
	v_cndmask_b32_e32 v7, v10, v7, vcc
	v_and_or_b32 v3, v4, s6, v3
	v_lshrrev_b32_e32 v8, 16, v8
	v_cmp_ne_u32_e32 vcc, 0, v3
	v_and_or_b32 v9, v8, s11, v7
	v_cndmask_b32_e64 v3, 0, 1, vcc
	v_lshrrev_b32_e32 v7, 8, v4
	v_bfe_u32 v8, v4, 20, 11
	v_and_or_b32 v7, v7, s7, v3
	v_sub_u32_e32 v10, 0x3f1, v8
	v_or_b32_e32 v3, 0x1000, v7
	v_med3_i32 v10, v10, 0, 13
	v_lshrrev_b32_e32 v11, v10, v3
	v_lshlrev_b32_e32 v10, v10, v11
	v_cmp_ne_u32_e32 vcc, v10, v3
	v_cndmask_b32_e64 v3, 0, 1, vcc
	v_add_u32_e32 v8, 0xfffffc10, v8
	v_or_b32_e32 v3, v11, v3
	v_lshl_or_b32 v10, v8, 12, v7
	v_cmp_gt_i32_e32 vcc, 1, v8
	v_cndmask_b32_e32 v3, v10, v3, vcc
	v_and_b32_e32 v10, 7, v3
	v_cmp_lt_i32_e32 vcc, 5, v10
	v_cmp_eq_u32_e64 s[0:1], 3, v10
	v_lshrrev_b32_e32 v3, 2, v3
	s_or_b64 vcc, s[0:1], vcc
	v_addc_co_u32_e32 v10, vcc, 0, v3, vcc
	ds_read2_b32 v[2:3], v2 offset0:56 offset1:134
	v_cmp_gt_i32_e32 vcc, 31, v8
	v_cndmask_b32_e32 v10, v1, v10, vcc
	v_cmp_ne_u32_e32 vcc, 0, v7
	v_cndmask_b32_e64 v7, 0, 1, vcc
	s_waitcnt lgkmcnt(0)
	v_lshrrev_b32_e32 v11, 16, v2
	v_mul_f16_sdwa v12, v44, v11 dst_sel:DWORD dst_unused:UNUSED_PAD src0_sel:WORD_1 src1_sel:DWORD
	v_fma_f16 v12, v44, v2, v12
	v_cvt_f32_f16_e32 v12, v12
	v_lshl_or_b32 v7, v7, 9, v1
	v_cmp_eq_u32_e32 vcc, s10, v8
	v_cndmask_b32_e32 v10, v10, v7, vcc
	v_cvt_f64_f32_e32 v[7:8], v12
	v_lshrrev_b32_e32 v4, 16, v4
	v_and_or_b32 v4, v4, s11, v10
	v_and_b32_e32 v9, 0xffff, v9
	v_mul_f64 v[7:8], v[7:8], s[4:5]
	v_lshl_or_b32 v9, v4, 16, v9
	v_mov_b32_e32 v10, s2
	v_add_co_u32_e32 v4, vcc, s3, v5
	v_addc_co_u32_e32 v5, vcc, v6, v10, vcc
	global_store_dword v[4:5], v9, off
	v_and_or_b32 v6, v8, s6, v7
	v_cmp_ne_u32_e32 vcc, 0, v6
	v_cndmask_b32_e64 v6, 0, 1, vcc
	v_lshrrev_b32_e32 v7, 8, v8
	v_and_or_b32 v9, v7, s7, v6
	v_bfe_u32 v7, v8, 20, 11
	v_sub_u32_e32 v10, 0x3f1, v7
	v_or_b32_e32 v6, 0x1000, v9
	v_med3_i32 v10, v10, 0, 13
	v_lshrrev_b32_e32 v12, v10, v6
	v_lshlrev_b32_e32 v10, v10, v12
	v_mul_f16_sdwa v2, v44, v2 dst_sel:DWORD dst_unused:UNUSED_PAD src0_sel:WORD_1 src1_sel:DWORD
	v_cmp_ne_u32_e32 vcc, v10, v6
	v_fma_f16 v2, v44, v11, -v2
	v_cndmask_b32_e64 v6, 0, 1, vcc
	v_add_u32_e32 v10, 0xfffffc10, v7
	v_cvt_f32_f16_e32 v2, v2
	v_or_b32_e32 v6, v12, v6
	v_lshl_or_b32 v7, v10, 12, v9
	v_cmp_gt_i32_e32 vcc, 1, v10
	v_cndmask_b32_e32 v6, v7, v6, vcc
	v_and_b32_e32 v7, 7, v6
	v_cmp_lt_i32_e32 vcc, 5, v7
	v_cmp_eq_u32_e64 s[0:1], 3, v7
	v_lshrrev_b32_e32 v11, 2, v6
	v_cvt_f64_f32_e32 v[6:7], v2
	s_or_b64 vcc, s[0:1], vcc
	v_addc_co_u32_e32 v2, vcc, 0, v11, vcc
	v_mul_f64 v[6:7], v[6:7], s[4:5]
	v_cmp_gt_i32_e32 vcc, 31, v10
	v_cndmask_b32_e32 v2, v1, v2, vcc
	v_cmp_ne_u32_e32 vcc, 0, v9
	v_cndmask_b32_e64 v9, 0, 1, vcc
	v_lshl_or_b32 v9, v9, 9, v1
	v_cmp_eq_u32_e32 vcc, s10, v10
	v_cndmask_b32_e32 v2, v2, v9, vcc
	v_and_or_b32 v6, v7, s6, v6
	v_lshrrev_b32_e32 v8, 16, v8
	v_cmp_ne_u32_e32 vcc, 0, v6
	v_and_or_b32 v2, v8, s11, v2
	v_cndmask_b32_e64 v6, 0, 1, vcc
	v_lshrrev_b32_e32 v8, 8, v7
	v_bfe_u32 v9, v7, 20, 11
	v_and_or_b32 v6, v8, s7, v6
	v_sub_u32_e32 v10, 0x3f1, v9
	v_or_b32_e32 v8, 0x1000, v6
	v_med3_i32 v10, v10, 0, 13
	v_lshrrev_b32_e32 v11, v10, v8
	v_lshlrev_b32_e32 v10, v10, v11
	v_cmp_ne_u32_e32 vcc, v10, v8
	v_cndmask_b32_e64 v8, 0, 1, vcc
	v_add_u32_e32 v10, 0xfffffc10, v9
	v_or_b32_e32 v8, v11, v8
	v_lshl_or_b32 v9, v10, 12, v6
	v_cmp_gt_i32_e32 vcc, 1, v10
	v_cndmask_b32_e32 v8, v9, v8, vcc
	v_and_b32_e32 v9, 7, v8
	v_cmp_lt_i32_e32 vcc, 5, v9
	v_cmp_eq_u32_e64 s[0:1], 3, v9
	v_lshrrev_b32_e32 v8, 2, v8
	s_or_b64 vcc, s[0:1], vcc
	v_addc_co_u32_e32 v11, vcc, 0, v8, vcc
	ds_read2_b32 v[8:9], v0 offset0:12 offset1:90
	v_cmp_gt_i32_e32 vcc, 31, v10
	v_cndmask_b32_e32 v0, v1, v11, vcc
	v_cmp_ne_u32_e32 vcc, 0, v6
	v_cndmask_b32_e64 v6, 0, 1, vcc
	s_waitcnt lgkmcnt(0)
	v_lshrrev_b32_e32 v12, 16, v8
	v_mul_f16_sdwa v11, v43, v12 dst_sel:DWORD dst_unused:UNUSED_PAD src0_sel:WORD_1 src1_sel:DWORD
	v_fma_f16 v11, v43, v8, v11
	v_cvt_f32_f16_e32 v11, v11
	v_cmp_eq_u32_e32 vcc, s10, v10
	v_lshl_or_b32 v6, v6, 9, v1
	v_cndmask_b32_e32 v0, v0, v6, vcc
	v_cvt_f64_f32_e32 v[10:11], v11
	v_lshrrev_b32_e32 v6, 16, v7
	v_and_or_b32 v0, v6, s11, v0
	v_and_b32_e32 v2, 0xffff, v2
	v_mul_f64 v[6:7], v[10:11], s[4:5]
	v_lshl_or_b32 v0, v0, 16, v2
	v_mov_b32_e32 v2, s9
	v_add_co_u32_e32 v4, vcc, s8, v4
	v_addc_co_u32_e32 v5, vcc, v5, v2, vcc
	global_store_dword v[4:5], v0, off
	v_and_or_b32 v0, v7, s6, v6
	v_cmp_ne_u32_e32 vcc, 0, v0
	v_cndmask_b32_e64 v0, 0, 1, vcc
	v_lshrrev_b32_e32 v2, 8, v7
	v_bfe_u32 v6, v7, 20, 11
	v_and_or_b32 v0, v2, s7, v0
	v_sub_u32_e32 v10, 0x3f1, v6
	v_or_b32_e32 v2, 0x1000, v0
	v_med3_i32 v10, v10, 0, 13
	v_lshrrev_b32_e32 v11, v10, v2
	v_lshlrev_b32_e32 v10, v10, v11
	v_mul_f16_sdwa v8, v43, v8 dst_sel:DWORD dst_unused:UNUSED_PAD src0_sel:WORD_1 src1_sel:DWORD
	v_cmp_ne_u32_e32 vcc, v10, v2
	v_fma_f16 v8, v43, v12, -v8
	v_cndmask_b32_e64 v2, 0, 1, vcc
	v_add_u32_e32 v6, 0xfffffc10, v6
	v_cvt_f32_f16_e32 v8, v8
	v_or_b32_e32 v2, v11, v2
	v_lshl_or_b32 v10, v6, 12, v0
	v_cmp_gt_i32_e32 vcc, 1, v6
	v_cndmask_b32_e32 v2, v10, v2, vcc
	v_and_b32_e32 v10, 7, v2
	v_cmp_lt_i32_e32 vcc, 5, v10
	v_cmp_eq_u32_e64 s[0:1], 3, v10
	v_cvt_f64_f32_e32 v[10:11], v8
	v_lshrrev_b32_e32 v2, 2, v2
	s_or_b64 vcc, s[0:1], vcc
	v_addc_co_u32_e32 v2, vcc, 0, v2, vcc
	v_mul_f64 v[10:11], v[10:11], s[4:5]
	v_cmp_gt_i32_e32 vcc, 31, v6
	v_cndmask_b32_e32 v2, v1, v2, vcc
	v_cmp_ne_u32_e32 vcc, 0, v0
	v_cndmask_b32_e64 v0, 0, 1, vcc
	v_lshl_or_b32 v0, v0, 9, v1
	v_cmp_eq_u32_e32 vcc, s10, v6
	v_cndmask_b32_e32 v0, v2, v0, vcc
	v_lshrrev_b32_e32 v2, 16, v7
	v_and_or_b32 v0, v2, s11, v0
	v_and_or_b32 v2, v11, s6, v10
	v_cmp_ne_u32_e32 vcc, 0, v2
	v_cndmask_b32_e64 v2, 0, 1, vcc
	v_lshrrev_b32_e32 v6, 8, v11
	v_bfe_u32 v7, v11, 20, 11
	v_and_or_b32 v2, v6, s7, v2
	v_sub_u32_e32 v8, 0x3f1, v7
	v_or_b32_e32 v6, 0x1000, v2
	v_med3_i32 v8, v8, 0, 13
	v_lshrrev_b32_e32 v10, v8, v6
	v_lshlrev_b32_e32 v8, v8, v10
	v_cmp_ne_u32_e32 vcc, v8, v6
	v_cndmask_b32_e64 v6, 0, 1, vcc
	v_add_u32_e32 v7, 0xfffffc10, v7
	v_or_b32_e32 v6, v10, v6
	v_lshl_or_b32 v8, v7, 12, v2
	v_cmp_gt_i32_e32 vcc, 1, v7
	v_cndmask_b32_e32 v6, v8, v6, vcc
	v_and_b32_e32 v8, 7, v6
	v_cmp_lt_i32_e32 vcc, 5, v8
	v_cmp_eq_u32_e64 s[0:1], 3, v8
	v_lshrrev_b32_e32 v8, 16, v3
	v_lshrrev_b32_e32 v6, 2, v6
	s_or_b64 vcc, s[0:1], vcc
	v_mul_f16_sdwa v10, v42, v8 dst_sel:DWORD dst_unused:UNUSED_PAD src0_sel:WORD_1 src1_sel:DWORD
	v_addc_co_u32_e32 v6, vcc, 0, v6, vcc
	v_fma_f16 v10, v42, v3, v10
	v_cmp_gt_i32_e32 vcc, 31, v7
	v_cvt_f32_f16_e32 v10, v10
	v_cndmask_b32_e32 v6, v1, v6, vcc
	v_cmp_ne_u32_e32 vcc, 0, v2
	v_cndmask_b32_e64 v2, 0, 1, vcc
	v_lshl_or_b32 v2, v2, 9, v1
	v_cmp_eq_u32_e32 vcc, s10, v7
	v_cndmask_b32_e32 v2, v6, v2, vcc
	v_cvt_f64_f32_e32 v[6:7], v10
	v_lshrrev_b32_e32 v10, 16, v11
	v_and_or_b32 v2, v10, s11, v2
	v_and_b32_e32 v0, 0xffff, v0
	v_mul_f64 v[6:7], v[6:7], s[4:5]
	v_lshl_or_b32 v0, v2, 16, v0
	v_mov_b32_e32 v2, s2
	v_add_co_u32_e32 v4, vcc, s3, v4
	v_addc_co_u32_e32 v5, vcc, v5, v2, vcc
	global_store_dword v[4:5], v0, off
	v_and_or_b32 v0, v7, s6, v6
	v_cmp_ne_u32_e32 vcc, 0, v0
	v_cndmask_b32_e64 v0, 0, 1, vcc
	v_lshrrev_b32_e32 v2, 8, v7
	v_bfe_u32 v6, v7, 20, 11
	v_and_or_b32 v0, v2, s7, v0
	v_sub_u32_e32 v10, 0x3f1, v6
	v_or_b32_e32 v2, 0x1000, v0
	v_med3_i32 v10, v10, 0, 13
	v_lshrrev_b32_e32 v11, v10, v2
	v_mul_f16_sdwa v3, v42, v3 dst_sel:DWORD dst_unused:UNUSED_PAD src0_sel:WORD_1 src1_sel:DWORD
	v_lshlrev_b32_e32 v10, v10, v11
	v_fma_f16 v3, v42, v8, -v3
	v_cmp_ne_u32_e32 vcc, v10, v2
	v_cvt_f32_f16_e32 v3, v3
	v_cndmask_b32_e64 v2, 0, 1, vcc
	v_add_u32_e32 v6, 0xfffffc10, v6
	v_or_b32_e32 v2, v11, v2
	v_lshl_or_b32 v10, v6, 12, v0
	v_cmp_gt_i32_e32 vcc, 1, v6
	v_cndmask_b32_e32 v2, v10, v2, vcc
	v_and_b32_e32 v10, 7, v2
	v_lshrrev_b32_e32 v8, 2, v2
	v_cvt_f64_f32_e32 v[2:3], v3
	v_cmp_lt_i32_e32 vcc, 5, v10
	v_cmp_eq_u32_e64 s[0:1], 3, v10
	s_or_b64 vcc, s[0:1], vcc
	v_mul_f64 v[2:3], v[2:3], s[4:5]
	v_addc_co_u32_e32 v8, vcc, 0, v8, vcc
	v_cmp_gt_i32_e32 vcc, 31, v6
	v_cndmask_b32_e32 v8, v1, v8, vcc
	v_cmp_ne_u32_e32 vcc, 0, v0
	v_cndmask_b32_e64 v0, 0, 1, vcc
	v_lshl_or_b32 v0, v0, 9, v1
	v_cmp_eq_u32_e32 vcc, s10, v6
	v_and_or_b32 v2, v3, s6, v2
	v_cndmask_b32_e32 v0, v8, v0, vcc
	v_lshrrev_b32_e32 v6, 16, v7
	v_cmp_ne_u32_e32 vcc, 0, v2
	v_and_or_b32 v0, v6, s11, v0
	v_cndmask_b32_e64 v2, 0, 1, vcc
	v_lshrrev_b32_e32 v6, 8, v3
	v_bfe_u32 v7, v3, 20, 11
	v_and_or_b32 v2, v6, s7, v2
	v_sub_u32_e32 v8, 0x3f1, v7
	v_or_b32_e32 v6, 0x1000, v2
	v_med3_i32 v8, v8, 0, 13
	v_lshrrev_b32_e32 v10, v8, v6
	v_lshlrev_b32_e32 v8, v8, v10
	v_cmp_ne_u32_e32 vcc, v8, v6
	v_cndmask_b32_e64 v6, 0, 1, vcc
	v_add_u32_e32 v7, 0xfffffc10, v7
	v_or_b32_e32 v6, v10, v6
	v_lshl_or_b32 v8, v7, 12, v2
	v_cmp_gt_i32_e32 vcc, 1, v7
	v_cndmask_b32_e32 v6, v8, v6, vcc
	v_and_b32_e32 v8, 7, v6
	v_cmp_lt_i32_e32 vcc, 5, v8
	v_cmp_eq_u32_e64 s[0:1], 3, v8
	v_lshrrev_b32_e32 v8, 16, v9
	v_lshrrev_b32_e32 v6, 2, v6
	s_or_b64 vcc, s[0:1], vcc
	v_mul_f16_sdwa v10, v41, v8 dst_sel:DWORD dst_unused:UNUSED_PAD src0_sel:WORD_1 src1_sel:DWORD
	v_addc_co_u32_e32 v6, vcc, 0, v6, vcc
	v_fma_f16 v10, v41, v9, v10
	v_cmp_gt_i32_e32 vcc, 31, v7
	v_cvt_f32_f16_e32 v10, v10
	v_cndmask_b32_e32 v6, v1, v6, vcc
	v_cmp_ne_u32_e32 vcc, 0, v2
	v_cndmask_b32_e64 v2, 0, 1, vcc
	v_lshl_or_b32 v2, v2, 9, v1
	v_cmp_eq_u32_e32 vcc, s10, v7
	v_cndmask_b32_e32 v2, v6, v2, vcc
	v_cvt_f64_f32_e32 v[6:7], v10
	v_lshrrev_b32_e32 v3, 16, v3
	v_and_or_b32 v10, v3, s11, v2
	v_and_b32_e32 v0, 0xffff, v0
	v_mul_f64 v[2:3], v[6:7], s[4:5]
	v_mov_b32_e32 v6, s9
	v_add_co_u32_e32 v4, vcc, s8, v4
	v_lshl_or_b32 v0, v10, 16, v0
	v_addc_co_u32_e32 v5, vcc, v5, v6, vcc
	global_store_dword v[4:5], v0, off
	v_and_or_b32 v0, v3, s6, v2
	v_cmp_ne_u32_e32 vcc, 0, v0
	v_cndmask_b32_e64 v0, 0, 1, vcc
	v_lshrrev_b32_e32 v2, 8, v3
	v_bfe_u32 v6, v3, 20, 11
	v_and_or_b32 v0, v2, s7, v0
	v_sub_u32_e32 v7, 0x3f1, v6
	v_or_b32_e32 v2, 0x1000, v0
	v_med3_i32 v7, v7, 0, 13
	v_lshrrev_b32_e32 v10, v7, v2
	v_lshlrev_b32_e32 v7, v7, v10
	v_cmp_ne_u32_e32 vcc, v7, v2
	v_mul_f16_sdwa v7, v41, v9 dst_sel:DWORD dst_unused:UNUSED_PAD src0_sel:WORD_1 src1_sel:DWORD
	v_cndmask_b32_e64 v2, 0, 1, vcc
	v_fma_f16 v7, v41, v8, -v7
	v_or_b32_e32 v2, v10, v2
	v_add_u32_e32 v10, 0xfffffc10, v6
	v_cvt_f32_f16_e32 v7, v7
	v_lshl_or_b32 v6, v10, 12, v0
	v_cmp_gt_i32_e32 vcc, 1, v10
	v_cndmask_b32_e32 v2, v6, v2, vcc
	v_and_b32_e32 v6, 7, v2
	v_cmp_lt_i32_e32 vcc, 5, v6
	v_cmp_eq_u32_e64 s[0:1], 3, v6
	v_cvt_f64_f32_e32 v[6:7], v7
	v_lshrrev_b32_e32 v2, 2, v2
	s_or_b64 vcc, s[0:1], vcc
	v_addc_co_u32_e32 v2, vcc, 0, v2, vcc
	v_mul_f64 v[6:7], v[6:7], s[4:5]
	v_cmp_gt_i32_e32 vcc, 31, v10
	v_cndmask_b32_e32 v2, v1, v2, vcc
	v_cmp_ne_u32_e32 vcc, 0, v0
	v_cndmask_b32_e64 v0, 0, 1, vcc
	v_lshl_or_b32 v0, v0, 9, v1
	v_cmp_eq_u32_e32 vcc, s10, v10
	v_cndmask_b32_e32 v0, v2, v0, vcc
	v_lshrrev_b32_e32 v2, 16, v3
	v_and_or_b32 v0, v2, s11, v0
	v_and_or_b32 v2, v7, s6, v6
	v_cmp_ne_u32_e32 vcc, 0, v2
	v_cndmask_b32_e64 v2, 0, 1, vcc
	v_lshrrev_b32_e32 v3, 8, v7
	v_bfe_u32 v6, v7, 20, 11
	v_and_or_b32 v2, v3, s7, v2
	v_sub_u32_e32 v8, 0x3f1, v6
	v_or_b32_e32 v3, 0x1000, v2
	v_med3_i32 v8, v8, 0, 13
	v_lshrrev_b32_e32 v9, v8, v3
	v_lshlrev_b32_e32 v8, v8, v9
	v_cmp_ne_u32_e32 vcc, v8, v3
	v_cndmask_b32_e64 v3, 0, 1, vcc
	v_add_u32_e32 v6, 0xfffffc10, v6
	v_or_b32_e32 v3, v9, v3
	v_lshl_or_b32 v8, v6, 12, v2
	v_cmp_gt_i32_e32 vcc, 1, v6
	v_cndmask_b32_e32 v3, v8, v3, vcc
	v_and_b32_e32 v8, 7, v3
	v_cmp_lt_i32_e32 vcc, 5, v8
	v_cmp_eq_u32_e64 s[0:1], 3, v8
	v_lshrrev_b32_e32 v3, 2, v3
	s_or_b64 vcc, s[0:1], vcc
	v_addc_co_u32_e32 v3, vcc, 0, v3, vcc
	v_cmp_gt_i32_e32 vcc, 31, v6
	v_cndmask_b32_e32 v3, v1, v3, vcc
	v_cmp_ne_u32_e32 vcc, 0, v2
	v_cndmask_b32_e64 v2, 0, 1, vcc
	v_lshl_or_b32 v1, v2, 9, v1
	v_cmp_eq_u32_e32 vcc, s10, v6
	v_cndmask_b32_e32 v1, v3, v1, vcc
	v_lshrrev_b32_e32 v2, 16, v7
	v_and_or_b32 v1, v2, s11, v1
	v_and_b32_e32 v0, 0xffff, v0
	v_lshl_or_b32 v2, v1, 16, v0
	v_mov_b32_e32 v1, s2
	v_add_co_u32_e32 v0, vcc, s3, v4
	v_addc_co_u32_e32 v1, vcc, v5, v1, vcc
	global_store_dword v[0:1], v2, off
.LBB0_10:
	s_endpgm
	.section	.rodata,"a",@progbits
	.p2align	6, 0x0
	.amdhsa_kernel bluestein_single_back_len936_dim1_half_op_CI_CI
		.amdhsa_group_segment_fixed_size 11232
		.amdhsa_private_segment_fixed_size 0
		.amdhsa_kernarg_size 104
		.amdhsa_user_sgpr_count 6
		.amdhsa_user_sgpr_private_segment_buffer 1
		.amdhsa_user_sgpr_dispatch_ptr 0
		.amdhsa_user_sgpr_queue_ptr 0
		.amdhsa_user_sgpr_kernarg_segment_ptr 1
		.amdhsa_user_sgpr_dispatch_id 0
		.amdhsa_user_sgpr_flat_scratch_init 0
		.amdhsa_user_sgpr_private_segment_size 0
		.amdhsa_uses_dynamic_stack 0
		.amdhsa_system_sgpr_private_segment_wavefront_offset 0
		.amdhsa_system_sgpr_workgroup_id_x 1
		.amdhsa_system_sgpr_workgroup_id_y 0
		.amdhsa_system_sgpr_workgroup_id_z 0
		.amdhsa_system_sgpr_workgroup_info 0
		.amdhsa_system_vgpr_workitem_id 0
		.amdhsa_next_free_vgpr 182
		.amdhsa_next_free_sgpr 29
		.amdhsa_reserve_vcc 1
		.amdhsa_reserve_flat_scratch 0
		.amdhsa_float_round_mode_32 0
		.amdhsa_float_round_mode_16_64 0
		.amdhsa_float_denorm_mode_32 3
		.amdhsa_float_denorm_mode_16_64 3
		.amdhsa_dx10_clamp 1
		.amdhsa_ieee_mode 1
		.amdhsa_fp16_overflow 0
		.amdhsa_exception_fp_ieee_invalid_op 0
		.amdhsa_exception_fp_denorm_src 0
		.amdhsa_exception_fp_ieee_div_zero 0
		.amdhsa_exception_fp_ieee_overflow 0
		.amdhsa_exception_fp_ieee_underflow 0
		.amdhsa_exception_fp_ieee_inexact 0
		.amdhsa_exception_int_div_zero 0
	.end_amdhsa_kernel
	.text
.Lfunc_end0:
	.size	bluestein_single_back_len936_dim1_half_op_CI_CI, .Lfunc_end0-bluestein_single_back_len936_dim1_half_op_CI_CI
                                        ; -- End function
	.section	.AMDGPU.csdata,"",@progbits
; Kernel info:
; codeLenInByte = 22296
; NumSgprs: 33
; NumVgprs: 182
; ScratchSize: 0
; MemoryBound: 0
; FloatMode: 240
; IeeeMode: 1
; LDSByteSize: 11232 bytes/workgroup (compile time only)
; SGPRBlocks: 4
; VGPRBlocks: 45
; NumSGPRsForWavesPerEU: 33
; NumVGPRsForWavesPerEU: 182
; Occupancy: 1
; WaveLimiterHint : 1
; COMPUTE_PGM_RSRC2:SCRATCH_EN: 0
; COMPUTE_PGM_RSRC2:USER_SGPR: 6
; COMPUTE_PGM_RSRC2:TRAP_HANDLER: 0
; COMPUTE_PGM_RSRC2:TGID_X_EN: 1
; COMPUTE_PGM_RSRC2:TGID_Y_EN: 0
; COMPUTE_PGM_RSRC2:TGID_Z_EN: 0
; COMPUTE_PGM_RSRC2:TIDIG_COMP_CNT: 0
	.type	__hip_cuid_79af1ce056c1403,@object ; @__hip_cuid_79af1ce056c1403
	.section	.bss,"aw",@nobits
	.globl	__hip_cuid_79af1ce056c1403
__hip_cuid_79af1ce056c1403:
	.byte	0                               ; 0x0
	.size	__hip_cuid_79af1ce056c1403, 1

	.ident	"AMD clang version 19.0.0git (https://github.com/RadeonOpenCompute/llvm-project roc-6.4.0 25133 c7fe45cf4b819c5991fe208aaa96edf142730f1d)"
	.section	".note.GNU-stack","",@progbits
	.addrsig
	.addrsig_sym __hip_cuid_79af1ce056c1403
	.amdgpu_metadata
---
amdhsa.kernels:
  - .args:
      - .actual_access:  read_only
        .address_space:  global
        .offset:         0
        .size:           8
        .value_kind:     global_buffer
      - .actual_access:  read_only
        .address_space:  global
        .offset:         8
        .size:           8
        .value_kind:     global_buffer
      - .actual_access:  read_only
        .address_space:  global
        .offset:         16
        .size:           8
        .value_kind:     global_buffer
      - .actual_access:  read_only
        .address_space:  global
        .offset:         24
        .size:           8
        .value_kind:     global_buffer
      - .actual_access:  read_only
        .address_space:  global
        .offset:         32
        .size:           8
        .value_kind:     global_buffer
      - .offset:         40
        .size:           8
        .value_kind:     by_value
      - .address_space:  global
        .offset:         48
        .size:           8
        .value_kind:     global_buffer
      - .address_space:  global
        .offset:         56
        .size:           8
        .value_kind:     global_buffer
      - .address_space:  global
        .offset:         64
        .size:           8
        .value_kind:     global_buffer
      - .address_space:  global
        .offset:         72
        .size:           8
        .value_kind:     global_buffer
      - .offset:         80
        .size:           4
        .value_kind:     by_value
      - .address_space:  global
        .offset:         88
        .size:           8
        .value_kind:     global_buffer
      - .address_space:  global
        .offset:         96
        .size:           8
        .value_kind:     global_buffer
    .group_segment_fixed_size: 11232
    .kernarg_segment_align: 8
    .kernarg_segment_size: 104
    .language:       OpenCL C
    .language_version:
      - 2
      - 0
    .max_flat_workgroup_size: 234
    .name:           bluestein_single_back_len936_dim1_half_op_CI_CI
    .private_segment_fixed_size: 0
    .sgpr_count:     33
    .sgpr_spill_count: 0
    .symbol:         bluestein_single_back_len936_dim1_half_op_CI_CI.kd
    .uniform_work_group_size: 1
    .uses_dynamic_stack: false
    .vgpr_count:     182
    .vgpr_spill_count: 0
    .wavefront_size: 64
amdhsa.target:   amdgcn-amd-amdhsa--gfx906
amdhsa.version:
  - 1
  - 2
...

	.end_amdgpu_metadata
